;; amdgpu-corpus repo=ROCm/rocFFT kind=compiled arch=gfx1201 opt=O3
	.text
	.amdgcn_target "amdgcn-amd-amdhsa--gfx1201"
	.amdhsa_code_object_version 6
	.protected	fft_rtc_back_len2560_factors_4_4_4_10_4_wgs_128_tpt_128_halfLds_dp_op_CI_CI_unitstride_sbrr_R2C_dirReg ; -- Begin function fft_rtc_back_len2560_factors_4_4_4_10_4_wgs_128_tpt_128_halfLds_dp_op_CI_CI_unitstride_sbrr_R2C_dirReg
	.globl	fft_rtc_back_len2560_factors_4_4_4_10_4_wgs_128_tpt_128_halfLds_dp_op_CI_CI_unitstride_sbrr_R2C_dirReg
	.p2align	8
	.type	fft_rtc_back_len2560_factors_4_4_4_10_4_wgs_128_tpt_128_halfLds_dp_op_CI_CI_unitstride_sbrr_R2C_dirReg,@function
fft_rtc_back_len2560_factors_4_4_4_10_4_wgs_128_tpt_128_halfLds_dp_op_CI_CI_unitstride_sbrr_R2C_dirReg: ; @fft_rtc_back_len2560_factors_4_4_4_10_4_wgs_128_tpt_128_halfLds_dp_op_CI_CI_unitstride_sbrr_R2C_dirReg
; %bb.0:
	s_clause 0x2
	s_load_b128 s[8:11], s[0:1], 0x0
	s_load_b128 s[4:7], s[0:1], 0x58
	;; [unrolled: 1-line block ×3, first 2 shown]
	v_mov_b32_e32 v3, 0
	v_mov_b32_e32 v1, 0
	v_dual_mov_b32 v2, 0 :: v_dual_mov_b32 v5, ttmp9
	s_mov_b32 s3, 0
	s_delay_alu instid0(VALU_DEP_3) | instskip(SKIP_2) | instid1(VALU_DEP_1)
	v_mov_b32_e32 v6, v3
	s_wait_kmcnt 0x0
	v_cmp_lt_u64_e64 s2, s[10:11], 2
	s_and_b32 vcc_lo, exec_lo, s2
	s_cbranch_vccnz .LBB0_8
; %bb.1:
	s_load_b64 s[20:21], s[0:1], 0x10
	v_mov_b32_e32 v1, 0
	v_mov_b32_e32 v2, 0
	s_add_nc_u64 s[16:17], s[14:15], 8
	s_add_nc_u64 s[18:19], s[12:13], 8
	s_mov_b64 s[22:23], 1
	s_delay_alu instid0(VALU_DEP_1)
	v_dual_mov_b32 v32, v2 :: v_dual_mov_b32 v31, v1
	s_wait_kmcnt 0x0
	s_add_nc_u64 s[20:21], s[20:21], 8
.LBB0_2:                                ; =>This Inner Loop Header: Depth=1
	s_load_b64 s[24:25], s[20:21], 0x0
                                        ; implicit-def: $vgpr35_vgpr36
	s_mov_b32 s2, exec_lo
	s_wait_kmcnt 0x0
	v_or_b32_e32 v4, s25, v6
	s_delay_alu instid0(VALU_DEP_1)
	v_cmpx_ne_u64_e32 0, v[3:4]
	s_wait_alu 0xfffe
	s_xor_b32 s26, exec_lo, s2
	s_cbranch_execz .LBB0_4
; %bb.3:                                ;   in Loop: Header=BB0_2 Depth=1
	s_cvt_f32_u32 s2, s24
	s_cvt_f32_u32 s27, s25
	s_sub_nc_u64 s[30:31], 0, s[24:25]
	s_wait_alu 0xfffe
	s_delay_alu instid0(SALU_CYCLE_1) | instskip(SKIP_1) | instid1(SALU_CYCLE_2)
	s_fmamk_f32 s2, s27, 0x4f800000, s2
	s_wait_alu 0xfffe
	v_s_rcp_f32 s2, s2
	s_delay_alu instid0(TRANS32_DEP_1) | instskip(SKIP_1) | instid1(SALU_CYCLE_2)
	s_mul_f32 s2, s2, 0x5f7ffffc
	s_wait_alu 0xfffe
	s_mul_f32 s27, s2, 0x2f800000
	s_wait_alu 0xfffe
	s_delay_alu instid0(SALU_CYCLE_2) | instskip(SKIP_1) | instid1(SALU_CYCLE_2)
	s_trunc_f32 s27, s27
	s_wait_alu 0xfffe
	s_fmamk_f32 s2, s27, 0xcf800000, s2
	s_cvt_u32_f32 s29, s27
	s_wait_alu 0xfffe
	s_delay_alu instid0(SALU_CYCLE_1) | instskip(SKIP_1) | instid1(SALU_CYCLE_2)
	s_cvt_u32_f32 s28, s2
	s_wait_alu 0xfffe
	s_mul_u64 s[34:35], s[30:31], s[28:29]
	s_wait_alu 0xfffe
	s_mul_hi_u32 s37, s28, s35
	s_mul_i32 s36, s28, s35
	s_mul_hi_u32 s2, s28, s34
	s_mul_i32 s33, s29, s34
	s_wait_alu 0xfffe
	s_add_nc_u64 s[36:37], s[2:3], s[36:37]
	s_mul_hi_u32 s27, s29, s34
	s_mul_hi_u32 s38, s29, s35
	s_add_co_u32 s2, s36, s33
	s_wait_alu 0xfffe
	s_add_co_ci_u32 s2, s37, s27
	s_mul_i32 s34, s29, s35
	s_add_co_ci_u32 s35, s38, 0
	s_wait_alu 0xfffe
	s_add_nc_u64 s[34:35], s[2:3], s[34:35]
	s_wait_alu 0xfffe
	v_add_co_u32 v4, s2, s28, s34
	s_delay_alu instid0(VALU_DEP_1) | instskip(SKIP_1) | instid1(VALU_DEP_1)
	s_cmp_lg_u32 s2, 0
	s_add_co_ci_u32 s29, s29, s35
	v_readfirstlane_b32 s28, v4
	s_wait_alu 0xfffe
	s_delay_alu instid0(VALU_DEP_1)
	s_mul_u64 s[30:31], s[30:31], s[28:29]
	s_wait_alu 0xfffe
	s_mul_hi_u32 s35, s28, s31
	s_mul_i32 s34, s28, s31
	s_mul_hi_u32 s2, s28, s30
	s_mul_i32 s33, s29, s30
	s_wait_alu 0xfffe
	s_add_nc_u64 s[34:35], s[2:3], s[34:35]
	s_mul_hi_u32 s27, s29, s30
	s_mul_hi_u32 s28, s29, s31
	s_wait_alu 0xfffe
	s_add_co_u32 s2, s34, s33
	s_add_co_ci_u32 s2, s35, s27
	s_mul_i32 s30, s29, s31
	s_add_co_ci_u32 s31, s28, 0
	s_wait_alu 0xfffe
	s_add_nc_u64 s[30:31], s[2:3], s[30:31]
	s_wait_alu 0xfffe
	v_add_co_u32 v4, s2, v4, s30
	s_delay_alu instid0(VALU_DEP_1) | instskip(SKIP_1) | instid1(VALU_DEP_1)
	s_cmp_lg_u32 s2, 0
	s_add_co_ci_u32 s2, s29, s31
	v_mul_hi_u32 v13, v5, v4
	s_wait_alu 0xfffe
	v_mad_co_u64_u32 v[7:8], null, v5, s2, 0
	v_mad_co_u64_u32 v[9:10], null, v6, v4, 0
	;; [unrolled: 1-line block ×3, first 2 shown]
	s_delay_alu instid0(VALU_DEP_3) | instskip(SKIP_1) | instid1(VALU_DEP_4)
	v_add_co_u32 v4, vcc_lo, v13, v7
	s_wait_alu 0xfffd
	v_add_co_ci_u32_e32 v7, vcc_lo, 0, v8, vcc_lo
	s_delay_alu instid0(VALU_DEP_2) | instskip(SKIP_1) | instid1(VALU_DEP_2)
	v_add_co_u32 v4, vcc_lo, v4, v9
	s_wait_alu 0xfffd
	v_add_co_ci_u32_e32 v4, vcc_lo, v7, v10, vcc_lo
	s_wait_alu 0xfffd
	v_add_co_ci_u32_e32 v7, vcc_lo, 0, v12, vcc_lo
	s_delay_alu instid0(VALU_DEP_2) | instskip(SKIP_1) | instid1(VALU_DEP_2)
	v_add_co_u32 v4, vcc_lo, v4, v11
	s_wait_alu 0xfffd
	v_add_co_ci_u32_e32 v9, vcc_lo, 0, v7, vcc_lo
	s_delay_alu instid0(VALU_DEP_2) | instskip(SKIP_1) | instid1(VALU_DEP_3)
	v_mul_lo_u32 v10, s25, v4
	v_mad_co_u64_u32 v[7:8], null, s24, v4, 0
	v_mul_lo_u32 v11, s24, v9
	s_delay_alu instid0(VALU_DEP_2) | instskip(NEXT) | instid1(VALU_DEP_2)
	v_sub_co_u32 v7, vcc_lo, v5, v7
	v_add3_u32 v8, v8, v11, v10
	s_delay_alu instid0(VALU_DEP_1) | instskip(SKIP_1) | instid1(VALU_DEP_1)
	v_sub_nc_u32_e32 v10, v6, v8
	s_wait_alu 0xfffd
	v_subrev_co_ci_u32_e64 v10, s2, s25, v10, vcc_lo
	v_add_co_u32 v11, s2, v4, 2
	s_wait_alu 0xf1ff
	v_add_co_ci_u32_e64 v12, s2, 0, v9, s2
	v_sub_co_u32 v13, s2, v7, s24
	v_sub_co_ci_u32_e32 v8, vcc_lo, v6, v8, vcc_lo
	s_wait_alu 0xf1ff
	v_subrev_co_ci_u32_e64 v10, s2, 0, v10, s2
	s_delay_alu instid0(VALU_DEP_3) | instskip(NEXT) | instid1(VALU_DEP_3)
	v_cmp_le_u32_e32 vcc_lo, s24, v13
	v_cmp_eq_u32_e64 s2, s25, v8
	s_wait_alu 0xfffd
	v_cndmask_b32_e64 v13, 0, -1, vcc_lo
	v_cmp_le_u32_e32 vcc_lo, s25, v10
	s_wait_alu 0xfffd
	v_cndmask_b32_e64 v14, 0, -1, vcc_lo
	v_cmp_le_u32_e32 vcc_lo, s24, v7
	;; [unrolled: 3-line block ×3, first 2 shown]
	s_wait_alu 0xfffd
	v_cndmask_b32_e64 v15, 0, -1, vcc_lo
	v_cmp_eq_u32_e32 vcc_lo, s25, v10
	s_wait_alu 0xf1ff
	s_delay_alu instid0(VALU_DEP_2)
	v_cndmask_b32_e64 v7, v15, v7, s2
	s_wait_alu 0xfffd
	v_cndmask_b32_e32 v10, v14, v13, vcc_lo
	v_add_co_u32 v13, vcc_lo, v4, 1
	s_wait_alu 0xfffd
	v_add_co_ci_u32_e32 v14, vcc_lo, 0, v9, vcc_lo
	s_delay_alu instid0(VALU_DEP_3) | instskip(SKIP_2) | instid1(VALU_DEP_3)
	v_cmp_ne_u32_e32 vcc_lo, 0, v10
	s_wait_alu 0xfffd
	v_cndmask_b32_e32 v10, v13, v11, vcc_lo
	v_cndmask_b32_e32 v8, v14, v12, vcc_lo
	v_cmp_ne_u32_e32 vcc_lo, 0, v7
	s_wait_alu 0xfffd
	s_delay_alu instid0(VALU_DEP_2)
	v_dual_cndmask_b32 v35, v4, v10 :: v_dual_cndmask_b32 v36, v9, v8
.LBB0_4:                                ;   in Loop: Header=BB0_2 Depth=1
	s_wait_alu 0xfffe
	s_and_not1_saveexec_b32 s2, s26
	s_cbranch_execz .LBB0_6
; %bb.5:                                ;   in Loop: Header=BB0_2 Depth=1
	v_cvt_f32_u32_e32 v4, s24
	s_sub_co_i32 s26, 0, s24
	v_mov_b32_e32 v36, v3
	s_delay_alu instid0(VALU_DEP_2) | instskip(NEXT) | instid1(TRANS32_DEP_1)
	v_rcp_iflag_f32_e32 v4, v4
	v_mul_f32_e32 v4, 0x4f7ffffe, v4
	s_delay_alu instid0(VALU_DEP_1) | instskip(SKIP_1) | instid1(VALU_DEP_1)
	v_cvt_u32_f32_e32 v4, v4
	s_wait_alu 0xfffe
	v_mul_lo_u32 v7, s26, v4
	s_delay_alu instid0(VALU_DEP_1) | instskip(NEXT) | instid1(VALU_DEP_1)
	v_mul_hi_u32 v7, v4, v7
	v_add_nc_u32_e32 v4, v4, v7
	s_delay_alu instid0(VALU_DEP_1) | instskip(NEXT) | instid1(VALU_DEP_1)
	v_mul_hi_u32 v4, v5, v4
	v_mul_lo_u32 v7, v4, s24
	v_add_nc_u32_e32 v8, 1, v4
	s_delay_alu instid0(VALU_DEP_2) | instskip(NEXT) | instid1(VALU_DEP_1)
	v_sub_nc_u32_e32 v7, v5, v7
	v_subrev_nc_u32_e32 v9, s24, v7
	v_cmp_le_u32_e32 vcc_lo, s24, v7
	s_wait_alu 0xfffd
	s_delay_alu instid0(VALU_DEP_2) | instskip(NEXT) | instid1(VALU_DEP_1)
	v_dual_cndmask_b32 v7, v7, v9 :: v_dual_cndmask_b32 v4, v4, v8
	v_cmp_le_u32_e32 vcc_lo, s24, v7
	s_delay_alu instid0(VALU_DEP_2) | instskip(SKIP_1) | instid1(VALU_DEP_1)
	v_add_nc_u32_e32 v8, 1, v4
	s_wait_alu 0xfffd
	v_cndmask_b32_e32 v35, v4, v8, vcc_lo
.LBB0_6:                                ;   in Loop: Header=BB0_2 Depth=1
	s_wait_alu 0xfffe
	s_or_b32 exec_lo, exec_lo, s2
	v_mul_lo_u32 v4, v36, s24
	s_delay_alu instid0(VALU_DEP_2)
	v_mul_lo_u32 v9, v35, s25
	s_load_b64 s[26:27], s[18:19], 0x0
	v_mad_co_u64_u32 v[7:8], null, v35, s24, 0
	s_load_b64 s[24:25], s[16:17], 0x0
	s_add_nc_u64 s[22:23], s[22:23], 1
	s_add_nc_u64 s[16:17], s[16:17], 8
	s_wait_alu 0xfffe
	v_cmp_ge_u64_e64 s2, s[22:23], s[10:11]
	s_add_nc_u64 s[18:19], s[18:19], 8
	s_add_nc_u64 s[20:21], s[20:21], 8
	v_add3_u32 v4, v8, v9, v4
	v_sub_co_u32 v5, vcc_lo, v5, v7
	s_wait_alu 0xfffd
	s_delay_alu instid0(VALU_DEP_2) | instskip(SKIP_2) | instid1(VALU_DEP_1)
	v_sub_co_ci_u32_e32 v4, vcc_lo, v6, v4, vcc_lo
	s_and_b32 vcc_lo, exec_lo, s2
	s_wait_kmcnt 0x0
	v_mul_lo_u32 v6, s26, v4
	v_mul_lo_u32 v7, s27, v5
	v_mad_co_u64_u32 v[1:2], null, s26, v5, v[1:2]
	v_mul_lo_u32 v4, s24, v4
	v_mul_lo_u32 v8, s25, v5
	v_mad_co_u64_u32 v[31:32], null, s24, v5, v[31:32]
	s_delay_alu instid0(VALU_DEP_4) | instskip(NEXT) | instid1(VALU_DEP_2)
	v_add3_u32 v2, v7, v2, v6
	v_add3_u32 v32, v8, v32, v4
	s_wait_alu 0xfffe
	s_cbranch_vccnz .LBB0_9
; %bb.7:                                ;   in Loop: Header=BB0_2 Depth=1
	v_dual_mov_b32 v5, v35 :: v_dual_mov_b32 v6, v36
	s_branch .LBB0_2
.LBB0_8:
	v_dual_mov_b32 v32, v2 :: v_dual_mov_b32 v31, v1
	v_dual_mov_b32 v36, v6 :: v_dual_mov_b32 v35, v5
.LBB0_9:
	s_load_b64 s[0:1], s[0:1], 0x28
	v_or_b32_e32 v33, 0x80, v0
	v_or_b32_e32 v39, 0x100, v0
	;; [unrolled: 1-line block ×4, first 2 shown]
	s_lshl_b64 s[10:11], s[10:11], 3
	s_wait_kmcnt 0x0
	v_cmp_gt_u64_e32 vcc_lo, s[0:1], v[35:36]
	v_cmp_le_u64_e64 s0, s[0:1], v[35:36]
	s_delay_alu instid0(VALU_DEP_1)
	s_and_saveexec_b32 s1, s0
	s_wait_alu 0xfffe
	s_xor_b32 s0, exec_lo, s1
; %bb.10:
	v_or_b32_e32 v33, 0x80, v0
	v_or_b32_e32 v39, 0x100, v0
	;; [unrolled: 1-line block ×4, first 2 shown]
                                        ; implicit-def: $vgpr1_vgpr2
; %bb.11:
	s_wait_alu 0xfffe
	s_or_saveexec_b32 s1, s0
	s_add_nc_u64 s[2:3], s[14:15], s[10:11]
	s_wait_alu 0xfffe
	s_xor_b32 exec_lo, exec_lo, s1
	s_cbranch_execz .LBB0_13
; %bb.12:
	s_add_nc_u64 s[10:11], s[12:13], s[10:11]
	v_lshlrev_b64_e32 v[1:2], 4, v[1:2]
	s_load_b64 s[10:11], s[10:11], 0x0
	v_lshlrev_b32_e32 v34, 4, v0
	s_delay_alu instid0(VALU_DEP_1)
	v_or_b32_e32 v92, 0x3800, v34
	v_or_b32_e32 v93, 0x7800, v34
	s_wait_kmcnt 0x0
	v_mul_lo_u32 v5, s11, v35
	v_mul_lo_u32 v6, s10, v36
	v_mad_co_u64_u32 v[3:4], null, s10, v35, 0
	s_delay_alu instid0(VALU_DEP_1) | instskip(NEXT) | instid1(VALU_DEP_1)
	v_add3_u32 v4, v4, v6, v5
	v_lshlrev_b64_e32 v[3:4], 4, v[3:4]
	s_delay_alu instid0(VALU_DEP_1) | instskip(SKIP_1) | instid1(VALU_DEP_2)
	v_add_co_u32 v3, s0, s4, v3
	s_wait_alu 0xf1ff
	v_add_co_ci_u32_e64 v4, s0, s5, v4, s0
	s_delay_alu instid0(VALU_DEP_2) | instskip(SKIP_1) | instid1(VALU_DEP_2)
	v_add_co_u32 v1, s0, v3, v1
	s_wait_alu 0xf1ff
	v_add_co_ci_u32_e64 v2, s0, v4, v2, s0
	s_delay_alu instid0(VALU_DEP_2) | instskip(SKIP_1) | instid1(VALU_DEP_2)
	v_add_co_u32 v29, s0, v1, v34
	s_wait_alu 0xf1ff
	v_add_co_ci_u32_e64 v30, s0, 0, v2, s0
	v_add_co_u32 v68, s0, v1, v92
	s_wait_alu 0xf1ff
	v_add_co_ci_u32_e64 v69, s0, 0, v2, s0
	v_add_co_u32 v72, s0, v1, v93
	s_wait_alu 0xf1ff
	v_add_co_ci_u32_e64 v73, s0, 0, v2, s0
	s_clause 0x13
	global_load_b128 v[1:4], v[29:30], off
	global_load_b128 v[5:8], v[29:30], off offset:2048
	global_load_b128 v[9:12], v[29:30], off offset:4096
	;; [unrolled: 1-line block ×13, first 2 shown]
	global_load_b128 v[68:71], v[68:69], off
	global_load_b128 v[72:75], v[72:73], off
	global_load_b128 v[76:79], v[29:30], off offset:32768
	global_load_b128 v[80:83], v[29:30], off offset:34816
	;; [unrolled: 1-line block ×4, first 2 shown]
	v_add_nc_u32_e32 v29, 0, v34
	v_add_nc_u32_e32 v30, 0, v92
	;; [unrolled: 1-line block ×3, first 2 shown]
	s_wait_loadcnt 0x13
	ds_store_b128 v29, v[1:4]
	s_wait_loadcnt 0x12
	ds_store_b128 v29, v[5:8] offset:2048
	s_wait_loadcnt 0x11
	ds_store_b128 v29, v[9:12] offset:4096
	;; [unrolled: 2-line block ×13, first 2 shown]
	s_wait_loadcnt 0x5
	ds_store_b128 v30, v[68:71]
	s_wait_loadcnt 0x4
	ds_store_b128 v34, v[72:75]
	s_wait_loadcnt 0x3
	ds_store_b128 v29, v[76:79] offset:32768
	s_wait_loadcnt 0x2
	ds_store_b128 v29, v[80:83] offset:34816
	;; [unrolled: 2-line block ×4, first 2 shown]
.LBB0_13:
	s_or_b32 exec_lo, exec_lo, s1
	v_lshlrev_b32_e32 v34, 4, v0
	s_load_b64 s[2:3], s[2:3], 0x0
	global_wb scope:SCOPE_SE
	s_wait_dscnt 0x0
	s_wait_kmcnt 0x0
	s_barrier_signal -1
	s_barrier_wait -1
	v_add_nc_u32_e32 v70, 0, v34
	global_inv scope:SCOPE_SE
	s_mov_b32 s10, 0x134454ff
	s_mov_b32 s11, 0xbfee6f0e
	;; [unrolled: 1-line block ×3, first 2 shown]
	ds_load_b128 v[1:4], v70 offset:20480
	ds_load_b128 v[5:8], v70
	ds_load_b128 v[9:12], v70 offset:10240
	ds_load_b128 v[13:16], v70 offset:30720
	;; [unrolled: 1-line block ×18, first 2 shown]
	global_wb scope:SCOPE_SE
	s_wait_dscnt 0x0
	v_add_f64_e64 v[68:69], v[5:6], -v[1:2]
	v_add_f64_e64 v[95:96], v[7:8], -v[3:4]
	;; [unrolled: 1-line block ×20, first 2 shown]
	s_barrier_signal -1
	s_barrier_wait -1
	global_inv scope:SCOPE_SE
	s_wait_alu 0xfffe
	s_mov_b32 s0, s10
	s_mov_b32 s12, 0x4755a5e
	;; [unrolled: 1-line block ×13, first 2 shown]
	v_fma_f64 v[5:6], v[5:6], 2.0, -v[68:69]
	v_fma_f64 v[58:59], v[7:8], 2.0, -v[95:96]
	;; [unrolled: 1-line block ×20, first 2 shown]
	v_add_f64_e32 v[1:2], v[68:69], v[1:2]
	v_add_f64_e64 v[3:4], v[95:96], -v[3:4]
	v_add_f64_e32 v[7:8], v[97:98], v[13:14]
	v_add_f64_e64 v[29:30], v[107:108], -v[29:30]
	v_add_f64_e64 v[11:12], v[5:6], -v[9:10]
	;; [unrolled: 1-line block ×7, first 2 shown]
	v_add_f64_e32 v[19:20], v[101:102], v[23:24]
	v_add_f64_e32 v[27:28], v[105:106], v[48:49]
	v_add_f64_e64 v[23:24], v[77:78], -v[25:26]
	v_add_f64_e64 v[25:26], v[83:84], -v[40:41]
	;; [unrolled: 1-line block ×4, first 2 shown]
	v_add_f64_e32 v[44:45], v[109:110], v[50:51]
	v_add_f64_e64 v[48:49], v[71:72], -v[46:47]
	v_add_f64_e64 v[50:51], v[73:74], -v[52:53]
	;; [unrolled: 1-line block ×3, first 2 shown]
	v_fma_f64 v[52:53], v[68:69], 2.0, -v[1:2]
	v_fma_f64 v[54:55], v[95:96], 2.0, -v[3:4]
	v_fma_f64 v[56:57], v[97:98], 2.0, -v[7:8]
	v_mad_u32_u24 v68, v0, 48, v70
	v_fma_f64 v[60:61], v[5:6], 2.0, -v[11:12]
	v_fma_f64 v[62:63], v[58:59], 2.0, -v[13:14]
	;; [unrolled: 1-line block ×3, first 2 shown]
	v_and_b32_e32 v6, 3, v0
	v_fma_f64 v[64:65], v[64:65], 2.0, -v[15:16]
	v_fma_f64 v[66:67], v[66:67], 2.0, -v[17:18]
	;; [unrolled: 1-line block ×3, first 2 shown]
	s_delay_alu instid0(VALU_DEP_4)
	v_mul_u32_u24_e32 v5, 3, v6
	v_fma_f64 v[79:80], v[77:78], 2.0, -v[23:24]
	v_fma_f64 v[81:82], v[83:84], 2.0, -v[25:26]
	;; [unrolled: 1-line block ×11, first 2 shown]
	v_lshlrev_b32_e32 v5, 4, v5
	v_lshl_add_u32 v74, v33, 6, 0
	v_lshl_add_u32 v73, v39, 6, 0
	;; [unrolled: 1-line block ×4, first 2 shown]
	ds_store_b128 v68, v[1:4] offset:48
	ds_store_b128 v68, v[11:14] offset:32
	;; [unrolled: 1-line block ×3, first 2 shown]
	ds_store_b128 v68, v[60:63]
	ds_store_b128 v74, v[64:67]
	ds_store_b128 v74, v[56:59] offset:16
	ds_store_b128 v74, v[15:18] offset:32
	ds_store_b128 v74, v[7:10] offset:48
	ds_store_b128 v73, v[79:82]
	ds_store_b128 v73, v[75:78] offset:16
	ds_store_b128 v73, v[23:26] offset:32
	ds_store_b128 v73, v[19:22] offset:48
	;; [unrolled: 4-line block ×4, first 2 shown]
	global_wb scope:SCOPE_SE
	s_wait_dscnt 0x0
	s_barrier_signal -1
	s_barrier_wait -1
	global_inv scope:SCOPE_SE
	s_clause 0x2
	global_load_b128 v[1:4], v5, s[8:9]
	global_load_b128 v[7:10], v5, s[8:9] offset:16
	global_load_b128 v[11:14], v5, s[8:9] offset:32
	ds_load_b128 v[15:18], v70 offset:10240
	ds_load_b128 v[19:22], v70 offset:20480
	;; [unrolled: 1-line block ×15, first 2 shown]
	ds_load_b128 v[92:95], v70
	v_mad_i32_i24 v75, 0xffffffd0, v33, v74
	v_lshlrev_b32_e32 v5, 2, v37
	s_wait_loadcnt_dscnt 0x20f
	v_mul_f64_e32 v[68:69], v[17:18], v[3:4]
	v_mul_f64_e32 v[96:97], v[15:16], v[3:4]
	s_wait_loadcnt_dscnt 0x10e
	v_mul_f64_e32 v[98:99], v[21:22], v[9:10]
	v_mul_f64_e32 v[100:101], v[19:20], v[9:10]
	;; [unrolled: 3-line block ×3, first 2 shown]
	s_wait_dscnt 0xc
	v_mul_f64_e32 v[106:107], v[29:30], v[3:4]
	v_mul_f64_e32 v[108:109], v[27:28], v[3:4]
	s_wait_dscnt 0x8
	v_mul_f64_e32 v[120:121], v[54:55], v[9:10]
	v_mul_f64_e32 v[122:123], v[52:53], v[9:10]
	;; [unrolled: 3-line block ×3, first 2 shown]
	v_mul_f64_e32 v[110:111], v[42:43], v[3:4]
	v_mul_f64_e32 v[112:113], v[40:41], v[3:4]
	v_mul_f64_e32 v[128:129], v[58:59], v[9:10]
	v_mul_f64_e32 v[130:131], v[56:57], v[9:10]
	s_wait_dscnt 0x3
	v_mul_f64_e32 v[132:133], v[82:83], v[13:14]
	v_mul_f64_e32 v[134:135], v[80:81], v[13:14]
	v_mul_f64_e32 v[114:115], v[46:47], v[3:4]
	v_mul_f64_e32 v[116:117], v[44:45], v[3:4]
	v_mul_f64_e32 v[136:137], v[62:63], v[9:10]
	v_mul_f64_e32 v[138:139], v[60:61], v[9:10]
	s_wait_dscnt 0x2
	v_mul_f64_e32 v[140:141], v[86:87], v[13:14]
	v_mul_f64_e32 v[142:143], v[84:85], v[13:14]
	;; [unrolled: 7-line block ×3, first 2 shown]
	v_fma_f64 v[68:69], v[15:16], v[1:2], v[68:69]
	v_fma_f64 v[96:97], v[17:18], v[1:2], -v[96:97]
	v_fma_f64 v[19:20], v[19:20], v[7:8], v[98:99]
	v_fma_f64 v[21:22], v[21:22], v[7:8], -v[100:101]
	;; [unrolled: 2-line block ×15, first 2 shown]
	v_mad_i32_i24 v78, 0xffffffd0, v39, v73
	ds_load_b128 v[1:4], v75
	v_mad_i32_i24 v77, 0xffffffd0, v38, v72
	v_mad_i32_i24 v76, 0xffffffd0, v37, v71
	ds_load_b128 v[7:10], v78
	ds_load_b128 v[11:14], v77
	;; [unrolled: 1-line block ×3, first 2 shown]
	global_wb scope:SCOPE_SE
	s_wait_dscnt 0x0
	s_barrier_signal -1
	v_add_f64_e64 v[102:103], v[92:93], -v[19:20]
	v_add_f64_e64 v[104:105], v[94:95], -v[21:22]
	;; [unrolled: 1-line block ×4, first 2 shown]
	s_barrier_wait -1
	global_inv scope:SCOPE_SE
	v_add_f64_e64 v[24:25], v[27:28], -v[98:99]
	v_add_f64_e64 v[106:107], v[1:2], -v[52:53]
	;; [unrolled: 1-line block ×16, first 2 shown]
	v_fma_f64 v[66:67], v[92:93], 2.0, -v[102:103]
	v_fma_f64 v[81:82], v[94:95], 2.0, -v[104:105]
	;; [unrolled: 1-line block ×16, first 2 shown]
	v_add_f64_e32 v[8:9], v[102:103], v[21:22]
	v_fma_f64 v[122:123], v[15:16], 2.0, -v[114:115]
	v_fma_f64 v[124:125], v[17:18], 2.0, -v[116:117]
	;; [unrolled: 1-line block ×4, first 2 shown]
	v_add_f64_e64 v[10:11], v[104:105], -v[19:20]
	v_add_f64_e32 v[12:13], v[106:107], v[52:53]
	v_add_f64_e64 v[14:15], v[108:109], -v[24:25]
	v_add_f64_e32 v[24:25], v[98:99], v[56:57]
	v_add_f64_e32 v[44:45], v[110:111], v[60:61]
	;; [unrolled: 1-line block ×3, first 2 shown]
	v_and_b32_e32 v7, 15, v0
	v_add_f64_e64 v[16:17], v[66:67], -v[68:69]
	v_add_f64_e64 v[18:19], v[81:82], -v[79:80]
	s_delay_alu instid0(VALU_DEP_3) | instskip(NEXT) | instid1(VALU_DEP_1)
	v_mul_u32_u24_e32 v69, 3, v7
	v_lshlrev_b32_e32 v69, 4, v69
	v_add_f64_e64 v[20:21], v[83:84], -v[1:2]
	v_add_f64_e64 v[22:23], v[3:4], -v[26:27]
	;; [unrolled: 1-line block ×6, first 2 shown]
	v_lshlrev_b32_e32 v1, 2, v0
	v_lshlrev_b32_e32 v2, 2, v33
	v_add_f64_e64 v[48:49], v[118:119], -v[85:86]
	v_add_f64_e64 v[50:51], v[120:121], -v[46:47]
	;; [unrolled: 1-line block ×3, first 2 shown]
	v_fma_f64 v[60:61], v[102:103], 2.0, -v[8:9]
	v_add_f64_e64 v[56:57], v[122:123], -v[87:88]
	v_add_f64_e64 v[58:59], v[124:125], -v[91:92]
	v_fma_f64 v[62:63], v[104:105], 2.0, -v[10:11]
	v_fma_f64 v[64:65], v[106:107], 2.0, -v[12:13]
	;; [unrolled: 1-line block ×10, first 2 shown]
	v_lshlrev_b32_e32 v3, 2, v39
	v_fma_f64 v[105:106], v[116:117], 2.0, -v[54:55]
	v_fma_f64 v[91:92], v[28:29], 2.0, -v[40:41]
	;; [unrolled: 1-line block ×4, first 2 shown]
	v_lshlrev_b32_e32 v4, 2, v38
	v_fma_f64 v[99:100], v[118:119], 2.0, -v[48:49]
	v_fma_f64 v[101:102], v[120:121], 2.0, -v[50:51]
	;; [unrolled: 1-line block ×3, first 2 shown]
	v_and_or_b32 v28, 0x1f0, v1, v6
	v_and_or_b32 v29, 0x3f0, v2, v6
	v_fma_f64 v[107:108], v[122:123], 2.0, -v[56:57]
	v_fma_f64 v[109:110], v[124:125], 2.0, -v[58:59]
	v_and_or_b32 v30, 0x5f0, v3, v6
	v_and_or_b32 v68, 0x7f0, v4, v6
	;; [unrolled: 1-line block ×3, first 2 shown]
	v_lshl_add_u32 v28, v28, 4, 0
	v_lshl_add_u32 v29, v29, 4, 0
	;; [unrolled: 1-line block ×5, first 2 shown]
	ds_store_b128 v28, v[8:11] offset:192
	ds_store_b128 v28, v[16:19] offset:128
	;; [unrolled: 1-line block ×3, first 2 shown]
	ds_store_b128 v28, v[79:82]
	ds_store_b128 v29, v[83:86]
	ds_store_b128 v29, v[64:67] offset:64
	ds_store_b128 v29, v[20:23] offset:128
	ds_store_b128 v29, v[12:15] offset:192
	ds_store_b128 v30, v[91:94]
	ds_store_b128 v30, v[87:90] offset:64
	ds_store_b128 v30, v[40:43] offset:128
	ds_store_b128 v30, v[24:27] offset:192
	ds_store_b128 v68, v[99:102]
	ds_store_b128 v68, v[95:98] offset:64
	ds_store_b128 v68, v[48:51] offset:128
	ds_store_b128 v68, v[44:47] offset:192
	ds_store_b128 v6, v[107:110]
	ds_store_b128 v6, v[103:106] offset:64
	ds_store_b128 v6, v[56:59] offset:128
	ds_store_b128 v6, v[52:55] offset:192
	global_wb scope:SCOPE_SE
	s_wait_dscnt 0x0
	s_barrier_signal -1
	s_barrier_wait -1
	global_inv scope:SCOPE_SE
	s_clause 0x2
	global_load_b128 v[8:11], v69, s[8:9] offset:192
	global_load_b128 v[12:15], v69, s[8:9] offset:208
	;; [unrolled: 1-line block ×3, first 2 shown]
	ds_load_b128 v[20:23], v70 offset:10240
	ds_load_b128 v[24:27], v70 offset:20480
	;; [unrolled: 1-line block ×15, first 2 shown]
	ds_load_b128 v[103:106], v70
	v_and_or_b32 v1, 0x1c0, v1, v7
	v_and_or_b32 v2, 0x3c0, v2, v7
	;; [unrolled: 1-line block ×5, first 2 shown]
	v_lshl_add_u32 v1, v1, 4, 0
	v_lshl_add_u32 v2, v2, 4, 0
	;; [unrolled: 1-line block ×5, first 2 shown]
	s_wait_loadcnt_dscnt 0x20f
	v_mul_f64_e32 v[28:29], v[22:23], v[10:11]
	v_mul_f64_e32 v[68:69], v[20:21], v[10:11]
	s_wait_loadcnt_dscnt 0x10e
	v_mul_f64_e32 v[107:108], v[26:27], v[14:15]
	v_mul_f64_e32 v[109:110], v[24:25], v[14:15]
	;; [unrolled: 3-line block ×3, first 2 shown]
	v_mul_f64_e32 v[111:112], v[42:43], v[10:11]
	v_mul_f64_e32 v[113:114], v[40:41], v[10:11]
	v_mul_f64_e32 v[115:116], v[46:47], v[14:15]
	v_mul_f64_e32 v[117:118], v[44:45], v[14:15]
	s_wait_dscnt 0x4
	v_mul_f64_e32 v[135:136], v[89:90], v[18:19]
	v_mul_f64_e32 v[137:138], v[87:88], v[18:19]
	v_mul_f64_e32 v[119:120], v[50:51], v[10:11]
	v_mul_f64_e32 v[121:122], v[48:49], v[10:11]
	v_mul_f64_e32 v[123:124], v[58:59], v[14:15]
	v_mul_f64_e32 v[125:126], v[56:57], v[14:15]
	s_wait_dscnt 0x3
	v_mul_f64_e32 v[143:144], v[93:94], v[18:19]
	v_mul_f64_e32 v[145:146], v[91:92], v[18:19]
	;; [unrolled: 7-line block ×4, first 2 shown]
	v_fma_f64 v[28:29], v[20:21], v[8:9], v[28:29]
	v_fma_f64 v[68:69], v[22:23], v[8:9], -v[68:69]
	v_fma_f64 v[24:25], v[24:25], v[12:13], v[107:108]
	v_fma_f64 v[26:27], v[26:27], v[12:13], -v[109:110]
	v_fma_f64 v[52:53], v[52:53], v[16:17], v[127:128]
	v_fma_f64 v[54:55], v[54:55], v[16:17], -v[129:130]
	v_fma_f64 v[40:41], v[40:41], v[8:9], v[111:112]
	v_fma_f64 v[42:43], v[42:43], v[8:9], -v[113:114]
	v_fma_f64 v[44:45], v[44:45], v[12:13], v[115:116]
	v_fma_f64 v[46:47], v[46:47], v[12:13], -v[117:118]
	v_fma_f64 v[87:88], v[87:88], v[16:17], v[135:136]
	v_fma_f64 v[89:90], v[89:90], v[16:17], -v[137:138]
	v_fma_f64 v[48:49], v[48:49], v[8:9], v[119:120]
	v_fma_f64 v[50:51], v[50:51], v[8:9], -v[121:122]
	v_fma_f64 v[56:57], v[56:57], v[12:13], v[123:124]
	v_fma_f64 v[58:59], v[58:59], v[12:13], -v[125:126]
	v_fma_f64 v[91:92], v[91:92], v[16:17], v[143:144]
	v_fma_f64 v[93:94], v[93:94], v[16:17], -v[145:146]
	v_fma_f64 v[64:65], v[64:65], v[8:9], v[131:132]
	v_fma_f64 v[66:67], v[66:67], v[8:9], -v[133:134]
	v_fma_f64 v[60:61], v[60:61], v[12:13], v[139:140]
	v_fma_f64 v[62:63], v[62:63], v[12:13], -v[141:142]
	v_fma_f64 v[95:96], v[95:96], v[16:17], v[149:150]
	v_fma_f64 v[97:98], v[97:98], v[16:17], -v[151:152]
	v_fma_f64 v[79:80], v[79:80], v[8:9], v[147:148]
	v_fma_f64 v[81:82], v[81:82], v[8:9], -v[10:11]
	v_fma_f64 v[83:84], v[83:84], v[12:13], v[153:154]
	v_fma_f64 v[85:86], v[85:86], v[12:13], -v[14:15]
	v_fma_f64 v[99:100], v[99:100], v[16:17], v[155:156]
	v_fma_f64 v[101:102], v[101:102], v[16:17], -v[18:19]
	ds_load_b128 v[8:11], v75
	ds_load_b128 v[12:15], v78
	;; [unrolled: 1-line block ×4, first 2 shown]
	global_wb scope:SCOPE_SE
	s_wait_dscnt 0x0
	s_barrier_signal -1
	s_barrier_wait -1
	global_inv scope:SCOPE_SE
	v_add_f64_e64 v[107:108], v[103:104], -v[24:25]
	v_add_f64_e64 v[109:110], v[105:106], -v[26:27]
	;; [unrolled: 1-line block ×20, first 2 shown]
	v_fma_f64 v[83:84], v[103:104], 2.0, -v[107:108]
	v_fma_f64 v[85:86], v[105:106], 2.0, -v[109:110]
	;; [unrolled: 1-line block ×8, first 2 shown]
	v_add_f64_e32 v[8:9], v[107:108], v[26:27]
	v_fma_f64 v[94:95], v[12:13], 2.0, -v[88:89]
	v_fma_f64 v[96:97], v[14:15], 2.0, -v[115:116]
	v_fma_f64 v[48:49], v[48:49], 2.0, -v[52:53]
	v_fma_f64 v[50:51], v[50:51], 2.0, -v[54:55]
	v_add_f64_e64 v[10:11], v[109:110], -v[24:25]
	v_add_f64_e32 v[12:13], v[111:112], v[46:47]
	v_fma_f64 v[98:99], v[16:17], 2.0, -v[117:118]
	v_fma_f64 v[102:103], v[18:19], 2.0, -v[119:120]
	v_fma_f64 v[64:65], v[64:65], 2.0, -v[56:57]
	v_fma_f64 v[66:67], v[66:67], 2.0, -v[58:59]
	v_add_f64_e64 v[14:15], v[113:114], -v[44:45]
	v_add_f64_e32 v[24:25], v[88:89], v[54:55]
	v_fma_f64 v[125:126], v[20:21], 2.0, -v[121:122]
	v_fma_f64 v[127:128], v[22:23], 2.0, -v[123:124]
	v_fma_f64 v[79:80], v[79:80], 2.0, -v[60:61]
	v_fma_f64 v[81:82], v[81:82], 2.0, -v[62:63]
	v_add_f64_e64 v[26:27], v[115:116], -v[52:53]
	v_add_f64_e32 v[44:45], v[117:118], v[58:59]
	v_add_f64_e64 v[46:47], v[119:120], -v[56:57]
	v_add_f64_e32 v[52:53], v[121:122], v[62:63]
	v_add_f64_e64 v[54:55], v[123:124], -v[60:61]
	v_add_f64_e64 v[16:17], v[83:84], -v[28:29]
	;; [unrolled: 1-line block ×5, first 2 shown]
	v_fma_f64 v[60:61], v[107:108], 2.0, -v[8:9]
	v_add_f64_e64 v[40:41], v[94:95], -v[48:49]
	v_add_f64_e64 v[42:43], v[96:97], -v[50:51]
	v_fma_f64 v[62:63], v[109:110], 2.0, -v[10:11]
	v_add_f64_e64 v[48:49], v[98:99], -v[64:65]
	v_add_f64_e64 v[50:51], v[102:103], -v[66:67]
	v_fma_f64 v[64:65], v[111:112], 2.0, -v[12:13]
	v_fma_f64 v[66:67], v[113:114], 2.0, -v[14:15]
	v_fma_f64 v[88:89], v[88:89], 2.0, -v[24:25]
	v_add_f64_e64 v[56:57], v[125:126], -v[79:80]
	v_add_f64_e64 v[58:59], v[127:128], -v[81:82]
	v_and_b32_e32 v79, 63, v0
	v_fma_f64 v[104:105], v[121:122], 2.0, -v[52:53]
	v_fma_f64 v[106:107], v[123:124], 2.0, -v[54:55]
	s_delay_alu instid0(VALU_DEP_3) | instskip(NEXT) | instid1(VALU_DEP_1)
	v_mul_u32_u24_e32 v6, 9, v79
	v_lshlrev_b32_e32 v68, 4, v6
	v_fma_f64 v[80:81], v[83:84], 2.0, -v[16:17]
	v_fma_f64 v[82:83], v[85:86], 2.0, -v[18:19]
	;; [unrolled: 1-line block ×13, first 2 shown]
	ds_store_b128 v1, v[8:11] offset:768
	ds_store_b128 v1, v[16:19] offset:512
	;; [unrolled: 1-line block ×3, first 2 shown]
	ds_store_b128 v1, v[80:83]
	ds_store_b128 v2, v[84:87]
	ds_store_b128 v2, v[64:67] offset:256
	ds_store_b128 v2, v[20:23] offset:512
	ds_store_b128 v2, v[12:15] offset:768
	ds_store_b128 v3, v[92:95]
	ds_store_b128 v3, v[88:91] offset:256
	ds_store_b128 v3, v[40:43] offset:512
	ds_store_b128 v3, v[24:27] offset:768
	;; [unrolled: 4-line block ×4, first 2 shown]
	global_wb scope:SCOPE_SE
	s_wait_dscnt 0x0
	s_barrier_signal -1
	s_barrier_wait -1
	global_inv scope:SCOPE_SE
	s_clause 0x8
	global_load_b128 v[40:43], v68, s[8:9] offset:976
	global_load_b128 v[5:8], v68, s[8:9] offset:1008
	;; [unrolled: 1-line block ×9, first 2 shown]
	ds_load_b128 v[44:47], v76
	ds_load_b128 v[48:51], v70 offset:10240
	ds_load_b128 v[52:55], v70 offset:16384
	;; [unrolled: 1-line block ×14, first 2 shown]
	s_wait_loadcnt_dscnt 0x80d
	v_mul_f64_e32 v[120:121], v[50:51], v[42:43]
	v_mul_f64_e32 v[25:26], v[46:47], v[42:43]
	;; [unrolled: 1-line block ×4, first 2 shown]
	s_wait_loadcnt_dscnt 0x70c
	v_mul_f64_e32 v[126:127], v[54:55], v[7:8]
	v_mul_f64_e32 v[128:129], v[52:53], v[7:8]
	s_wait_dscnt 0xb
	v_mul_f64_e32 v[130:131], v[58:59], v[7:8]
	v_mul_f64_e32 v[132:133], v[56:57], v[7:8]
	s_wait_loadcnt_dscnt 0x609
	v_mul_f64_e32 v[134:135], v[66:67], v[23:24]
	v_mul_f64_e32 v[136:137], v[64:65], v[23:24]
	s_wait_dscnt 0x8
	v_mul_f64_e32 v[138:139], v[86:87], v[23:24]
	s_wait_loadcnt_dscnt 0x507
	v_mul_f64_e32 v[140:141], v[90:91], v[29:30]
	v_mul_f64_e32 v[142:143], v[84:85], v[23:24]
	v_mul_f64_e32 v[144:145], v[88:89], v[29:30]
	s_wait_dscnt 0x6
	v_mul_f64_e32 v[146:147], v[94:95], v[29:30]
	v_mul_f64_e32 v[148:149], v[92:93], v[29:30]
	s_wait_loadcnt 0x4
	v_mul_f64_e32 v[150:151], v[62:63], v[19:20]
	s_wait_loadcnt_dscnt 0x304
	v_mul_f64_e32 v[154:155], v[102:103], v[15:16]
	s_wait_loadcnt_dscnt 0x203
	v_mul_f64_e32 v[158:159], v[106:107], v[11:12]
	s_wait_loadcnt_dscnt 0x102
	v_mul_f64_e32 v[162:163], v[110:111], v[82:83]
	v_mul_f64_e32 v[152:153], v[60:61], v[19:20]
	;; [unrolled: 1-line block ×5, first 2 shown]
	s_wait_dscnt 0x1
	v_mul_f64_e32 v[166:167], v[112:113], v[15:16]
	v_fma_f64 v[7:8], v[48:49], v[40:41], v[120:121]
	ds_load_b128 v[120:123], v70 offset:30720
	v_fma_f64 v[29:30], v[44:45], v[40:41], v[25:26]
	v_fma_f64 v[42:43], v[46:47], v[40:41], -v[68:69]
	v_fma_f64 v[40:41], v[50:51], v[40:41], -v[124:125]
	v_fma_f64 v[46:47], v[52:53], v[5:6], v[126:127]
	ds_load_b128 v[124:127], v75
	v_fma_f64 v[44:45], v[54:55], v[5:6], -v[128:129]
	v_mul_f64_e32 v[128:129], v[98:99], v[19:20]
	v_fma_f64 v[56:57], v[56:57], v[5:6], v[130:131]
	v_fma_f64 v[52:53], v[58:59], v[5:6], -v[132:133]
	v_mul_f64_e32 v[130:131], v[96:97], v[19:20]
	v_mul_f64_e32 v[132:133], v[114:115], v[15:16]
	v_fma_f64 v[134:135], v[64:65], v[21:22], v[134:135]
	v_fma_f64 v[68:69], v[66:67], v[21:22], -v[136:137]
	v_fma_f64 v[50:51], v[88:89], v[27:28], v[140:141]
	v_fma_f64 v[48:49], v[90:91], v[27:28], -v[144:145]
	s_wait_dscnt 0x2
	v_mul_f64_e32 v[90:91], v[118:119], v[82:83]
	v_mul_f64_e32 v[140:141], v[116:117], v[82:83]
	v_fma_f64 v[54:55], v[84:85], v[21:22], v[138:139]
	v_fma_f64 v[5:6], v[92:93], v[27:28], v[146:147]
	s_wait_dscnt 0x1
	v_mul_f64_e32 v[168:169], v[122:123], v[11:12]
	v_mul_f64_e32 v[136:137], v[120:121], v[11:12]
	v_fma_f64 v[21:22], v[86:87], v[21:22], -v[142:143]
	v_fma_f64 v[11:12], v[94:95], v[27:28], -v[148:149]
	v_fma_f64 v[92:93], v[60:61], v[17:18], v[150:151]
	v_fma_f64 v[94:95], v[100:101], v[13:14], v[154:155]
	;; [unrolled: 1-line block ×4, first 2 shown]
	v_fma_f64 v[60:61], v[62:63], v[17:18], -v[152:153]
	v_fma_f64 v[64:65], v[102:103], v[13:14], -v[156:157]
	;; [unrolled: 1-line block ×4, first 2 shown]
	ds_load_b128 v[23:26], v78
	ds_load_b128 v[82:85], v70 offset:6144
	ds_load_b128 v[86:89], v70
	v_fma_f64 v[27:28], v[114:115], v[13:14], -v[166:167]
	global_wb scope:SCOPE_SE
	s_wait_loadcnt_dscnt 0x0
	s_barrier_signal -1
	s_barrier_wait -1
	global_inv scope:SCOPE_SE
	v_add_f64_e32 v[158:159], v[126:127], v[40:41]
	v_add_f64_e64 v[142:143], v[46:47], -v[29:30]
	v_add_f64_e64 v[146:147], v[44:45], -v[42:43]
	v_fma_f64 v[96:97], v[96:97], v[17:18], v[128:129]
	v_add_f64_e64 v[128:129], v[42:43], -v[44:45]
	v_add_f64_e64 v[154:155], v[7:8], -v[56:57]
	v_fma_f64 v[62:63], v[98:99], v[17:18], -v[130:131]
	v_fma_f64 v[98:99], v[112:113], v[13:14], v[132:133]
	v_add_f64_e32 v[108:109], v[46:47], v[134:135]
	v_add_f64_e32 v[112:113], v[44:45], v[68:69]
	v_mul_f64_e32 v[100:101], v[25:26], v[3:4]
	v_mul_f64_e32 v[102:103], v[23:24], v[3:4]
	;; [unrolled: 1-line block ×4, first 2 shown]
	v_add_f64_e32 v[110:111], v[29:30], v[50:51]
	v_add_f64_e32 v[114:115], v[42:43], v[48:49]
	v_fma_f64 v[13:14], v[120:121], v[9:10], v[168:169]
	v_fma_f64 v[17:18], v[122:123], v[9:10], -v[136:137]
	v_fma_f64 v[3:4], v[116:117], v[80:81], v[90:91]
	v_add_f64_e32 v[90:91], v[56:57], v[54:55]
	v_add_f64_e32 v[116:117], v[7:8], v[5:6]
	;; [unrolled: 1-line block ×4, first 2 shown]
	v_fma_f64 v[9:10], v[118:119], v[80:81], -v[140:141]
	v_add_f64_e64 v[80:81], v[29:30], -v[46:47]
	v_add_f64_e64 v[118:119], v[50:51], -v[134:135]
	;; [unrolled: 1-line block ×13, first 2 shown]
	v_add_f64_e32 v[158:159], v[158:159], v[52:53]
	v_fma_f64 v[108:109], v[108:109], -0.5, v[86:87]
	v_fma_f64 v[23:24], v[23:24], v[1:2], v[100:101]
	v_fma_f64 v[25:26], v[25:26], v[1:2], -v[102:103]
	v_add_f64_e64 v[100:101], v[64:65], -v[60:61]
	v_add_f64_e64 v[102:103], v[58:59], -v[19:20]
	v_fma_f64 v[82:83], v[82:83], v[1:2], v[104:105]
	v_fma_f64 v[1:2], v[84:85], v[1:2], -v[106:107]
	v_add_f64_e32 v[84:85], v[86:87], v[29:30]
	v_add_f64_e32 v[104:105], v[88:89], v[42:43]
	;; [unrolled: 1-line block ×3, first 2 shown]
	v_fma_f64 v[86:87], v[110:111], -0.5, v[86:87]
	v_fma_f64 v[110:111], v[112:113], -0.5, v[88:89]
	;; [unrolled: 1-line block ×3, first 2 shown]
	v_add_f64_e64 v[112:113], v[11:12], -v[21:22]
	v_add_f64_e64 v[114:115], v[96:97], -v[98:99]
	v_fma_f64 v[90:91], v[90:91], -0.5, v[124:125]
	v_fma_f64 v[116:117], v[116:117], -0.5, v[124:125]
	;; [unrolled: 1-line block ×4, first 2 shown]
	v_add_f64_e64 v[124:125], v[3:4], -v[13:14]
	v_add_f64_e64 v[126:127], v[62:63], -v[27:28]
	v_add_f64_e32 v[80:81], v[80:81], v[118:119]
	v_add_f64_e64 v[118:119], v[9:10], -v[17:18]
	v_add_f64_e32 v[128:129], v[128:129], v[130:131]
	;; [unrolled: 2-line block ×8, first 2 shown]
	v_add_f64_e32 v[156:157], v[92:93], v[15:16]
	v_add_f64_e64 v[42:43], v[42:43], -v[48:49]
	v_add_f64_e64 v[29:30], v[29:30], -v[50:51]
	;; [unrolled: 1-line block ×5, first 2 shown]
	v_add_f64_e32 v[100:101], v[100:101], v[102:103]
	v_add_f64_e32 v[102:103], v[94:95], v[66:67]
	;; [unrolled: 1-line block ×4, first 2 shown]
	v_add_f64_e64 v[46:47], v[46:47], -v[134:135]
	v_add_f64_e32 v[104:105], v[104:105], v[44:45]
	v_add_f64_e32 v[106:107], v[106:107], v[56:57]
	v_add_f64_e64 v[44:45], v[44:45], -v[68:69]
	v_add_f64_e64 v[56:57], v[56:57], -v[54:55]
	v_add_f64_e32 v[112:113], v[160:161], v[112:113]
	v_add_f64_e64 v[160:161], v[27:28], -v[62:63]
	v_add_f64_e32 v[114:115], v[114:115], v[124:125]
	;; [unrolled: 2-line block ×3, first 2 shown]
	v_add_f64_e32 v[126:127], v[64:65], v[58:59]
	v_add_f64_e32 v[130:131], v[130:131], v[136:137]
	;; [unrolled: 1-line block ×7, first 2 shown]
	v_fma_f64 v[156:157], v[156:157], -0.5, v[23:24]
	v_fma_f64 v[102:103], v[102:103], -0.5, v[23:24]
	v_add_f64_e32 v[23:24], v[23:24], v[92:93]
	v_add_f64_e32 v[84:85], v[84:85], v[134:135]
	;; [unrolled: 1-line block ×3, first 2 shown]
	v_add_f64_e64 v[92:93], v[92:93], -v[15:16]
	v_add_f64_e32 v[68:69], v[104:105], v[68:69]
	v_add_f64_e32 v[54:55], v[106:107], v[54:55]
	;; [unrolled: 1-line block ×5, first 2 shown]
	v_fma_f64 v[126:127], v[126:127], -0.5, v[25:26]
	v_fma_f64 v[136:137], v[136:137], -0.5, v[25:26]
	v_add_f64_e32 v[25:26], v[25:26], v[60:61]
	v_add_f64_e64 v[60:61], v[60:61], -v[19:20]
	v_fma_f64 v[144:145], v[144:145], -0.5, v[82:83]
	v_fma_f64 v[152:153], v[152:153], -0.5, v[82:83]
	v_add_f64_e32 v[82:83], v[82:83], v[96:97]
	v_add_f64_e64 v[96:97], v[96:97], -v[3:4]
	v_add_f64_e32 v[23:24], v[23:24], v[94:95]
	v_add_f64_e64 v[94:95], v[94:95], -v[66:67]
	v_fma_f64 v[134:135], v[134:135], -0.5, v[1:2]
	v_add_f64_e32 v[50:51], v[84:85], v[50:51]
	v_add_f64_e32 v[48:49], v[68:69], v[48:49]
	v_fma_f64 v[160:161], v[160:161], -0.5, v[1:2]
	v_add_f64_e32 v[1:2], v[1:2], v[62:63]
	v_add_f64_e64 v[62:63], v[62:63], -v[9:10]
	v_add_f64_e32 v[25:26], v[25:26], v[64:65]
	v_add_f64_e64 v[64:65], v[64:65], -v[58:59]
	;; [unrolled: 2-line block ×3, first 2 shown]
	v_add_f64_e32 v[23:24], v[23:24], v[66:67]
	s_wait_alu 0xfffe
	v_fma_f64 v[66:67], v[92:93], s[0:1], v[126:127]
	v_fma_f64 v[126:127], v[92:93], s[10:11], v[126:127]
	;; [unrolled: 1-line block ×4, first 2 shown]
	v_add_f64_e32 v[1:2], v[1:2], v[27:28]
	v_add_f64_e64 v[27:28], v[27:28], -v[17:18]
	v_fma_f64 v[158:159], v[62:63], s[10:11], v[144:145]
	v_fma_f64 v[144:145], v[62:63], s[0:1], v[144:145]
	v_add_f64_e32 v[25:26], v[25:26], v[58:59]
	v_fma_f64 v[58:59], v[96:97], s[0:1], v[160:161]
	v_fma_f64 v[160:161], v[96:97], s[10:11], v[160:161]
	v_add_f64_e32 v[13:14], v[82:83], v[13:14]
	v_fma_f64 v[106:107], v[98:99], s[10:11], v[134:135]
	v_fma_f64 v[134:135], v[98:99], s[0:1], v[134:135]
	;; [unrolled: 1-line block ×3, first 2 shown]
	v_add_f64_e32 v[15:16], v[23:24], v[15:16]
	v_fma_f64 v[66:67], v[94:95], s[4:5], v[66:67]
	v_fma_f64 v[94:95], v[94:95], s[12:13], v[126:127]
	;; [unrolled: 1-line block ×8, first 2 shown]
	v_add_f64_e32 v[23:24], v[54:55], v[5:6]
	v_add_f64_e32 v[1:2], v[1:2], v[17:18]
	v_fma_f64 v[84:85], v[27:28], s[0:1], v[152:153]
	v_fma_f64 v[152:153], v[27:28], s[10:11], v[152:153]
	;; [unrolled: 1-line block ×11, first 2 shown]
	v_add_f64_e32 v[19:20], v[25:26], v[19:20]
	v_add_f64_e32 v[3:4], v[13:14], v[3:4]
	v_fma_f64 v[106:107], v[96:97], s[4:5], v[106:107]
	v_fma_f64 v[96:97], v[96:97], s[12:13], v[134:135]
	;; [unrolled: 1-line block ×4, first 2 shown]
	v_add_f64_e32 v[5:6], v[50:51], v[15:16]
	v_fma_f64 v[66:67], v[138:139], s[14:15], v[66:67]
	v_fma_f64 v[94:95], v[138:139], s[14:15], v[94:95]
	;; [unrolled: 1-line block ×23, first 2 shown]
	v_add_f64_e32 v[1:2], v[1:2], v[9:10]
	v_add_f64_e64 v[9:10], v[50:51], -v[15:16]
	v_fma_f64 v[27:28], v[114:115], s[14:15], v[27:28]
	v_add_f64_e64 v[11:12], v[48:49], -v[19:20]
	v_add_f64_e32 v[13:14], v[23:24], v[3:4]
	v_fma_f64 v[106:107], v[124:125], s[14:15], v[106:107]
	v_fma_f64 v[68:69], v[124:125], s[14:15], v[96:97]
	;; [unrolled: 1-line block ×7, first 2 shown]
	v_mul_f64_e32 v[110:111], s[12:13], v[66:67]
	v_mul_f64_e32 v[66:67], s[16:17], v[66:67]
	v_fma_f64 v[108:109], v[132:133], s[14:15], v[126:127]
	v_mul_f64_e32 v[118:119], s[10:11], v[104:105]
	v_mul_f64_e32 v[104:105], s[14:15], v[104:105]
	;; [unrolled: 1-line block ×4, first 2 shown]
	v_fma_f64 v[102:103], v[40:41], s[12:13], v[102:103]
	v_fma_f64 v[40:41], v[40:41], s[4:5], v[116:117]
	;; [unrolled: 1-line block ×7, first 2 shown]
	v_mul_f64_e32 v[90:91], s[12:13], v[94:95]
	v_mul_f64_e32 v[94:95], s[20:21], v[94:95]
	v_fma_f64 v[100:101], v[7:8], s[4:5], v[100:101]
	v_fma_f64 v[7:8], v[7:8], s[12:13], v[122:123]
	;; [unrolled: 1-line block ×6, first 2 shown]
	v_mul_f64_e32 v[126:127], s[12:13], v[58:59]
	v_mul_f64_e32 v[58:59], s[16:17], v[58:59]
	v_fma_f64 v[62:63], v[148:149], s[14:15], v[62:63]
	v_fma_f64 v[25:26], v[80:81], s[14:15], v[86:87]
	;; [unrolled: 1-line block ×4, first 2 shown]
	v_add_f64_e32 v[15:16], v[21:22], v[1:2]
	v_add_f64_e64 v[17:18], v[23:24], -v[3:4]
	v_mul_f64_e32 v[132:133], s[10:11], v[106:107]
	v_mul_f64_e32 v[106:107], s[14:15], v[106:107]
	;; [unrolled: 1-line block ×6, first 2 shown]
	v_fma_f64 v[54:55], v[128:129], s[14:15], v[88:89]
	v_fma_f64 v[88:89], v[142:143], s[14:15], v[42:43]
	;; [unrolled: 1-line block ×7, first 2 shown]
	v_mul_i32_i24_e32 v3, 3, v33
	v_mov_b32_e32 v4, 0
	v_fma_f64 v[102:103], v[130:131], s[14:15], v[102:103]
	v_fma_f64 v[44:45], v[116:117], s[14:15], v[118:119]
	;; [unrolled: 1-line block ×13, first 2 shown]
	v_lshrrev_b32_e32 v130, 6, v0
	v_fma_f64 v[94:95], v[120:121], s[16:17], v[126:127]
	v_fma_f64 v[118:119], v[120:121], s[4:5], v[58:59]
	;; [unrolled: 1-line block ×3, first 2 shown]
	v_add_f64_e32 v[7:8], v[48:49], v[19:20]
	v_add_f64_e64 v[19:20], v[21:22], -v[1:2]
	v_lshrrev_b32_e32 v131, 6, v33
	v_mul_u32_u24_e32 v2, 0x280, v130
	v_fma_f64 v[124:125], v[84:85], s[14:15], v[132:133]
	v_fma_f64 v[106:107], v[84:85], s[0:1], v[106:107]
	;; [unrolled: 1-line block ×6, first 2 shown]
	v_mul_lo_u32 v1, 0x280, v131
	v_or_b32_e32 v2, v2, v79
	s_mov_b32 s1, exec_lo
	v_add_f64_e32 v[21:22], v[25:26], v[42:43]
	v_add_f64_e32 v[23:24], v[54:55], v[66:67]
	v_add_f64_e64 v[25:26], v[25:26], -v[42:43]
	v_add_f64_e64 v[27:28], v[54:55], -v[66:67]
	v_or_b32_e32 v1, v1, v79
	v_lshl_add_u32 v2, v2, 4, 0
	v_add_f64_e32 v[40:41], v[86:87], v[44:45]
	v_add_f64_e32 v[42:43], v[82:83], v[104:105]
	;; [unrolled: 1-line block ×4, first 2 shown]
	v_add_f64_e64 v[44:45], v[86:87], -v[44:45]
	v_add_f64_e32 v[56:57], v[80:81], v[90:91]
	v_add_f64_e32 v[58:59], v[108:109], v[64:65]
	v_add_f64_e64 v[46:47], v[82:83], -v[104:105]
	v_add_f64_e64 v[52:53], v[88:89], -v[110:111]
	;; [unrolled: 1-line block ×5, first 2 shown]
	v_mul_u32_u24_e32 v29, 3, v0
	v_add_f64_e32 v[64:65], v[98:99], v[94:95]
	v_add_f64_e32 v[66:67], v[92:93], v[118:119]
	v_add_f64_e64 v[80:81], v[98:99], -v[94:95]
	v_add_f64_e64 v[82:83], v[92:93], -v[118:119]
	v_lshlrev_b32_e32 v29, 4, v29
	v_lshl_add_u32 v1, v1, 4, 0
	v_add_f64_e32 v[84:85], v[102:103], v[124:125]
	v_add_f64_e32 v[86:87], v[100:101], v[106:107]
	;; [unrolled: 1-line block ×6, first 2 shown]
	v_add_f64_e64 v[88:89], v[102:103], -v[124:125]
	v_add_f64_e64 v[90:91], v[100:101], -v[106:107]
	;; [unrolled: 1-line block ×6, first 2 shown]
	ds_store_b128 v2, v[5:8]
	ds_store_b128 v2, v[21:24] offset:1024
	ds_store_b128 v2, v[40:43] offset:2048
	;; [unrolled: 1-line block ×9, first 2 shown]
	ds_store_b128 v1, v[13:16]
	ds_store_b128 v1, v[64:67] offset:1024
	ds_store_b128 v1, v[84:87] offset:2048
	;; [unrolled: 1-line block ×9, first 2 shown]
	global_wb scope:SCOPE_SE
	s_wait_dscnt 0x0
	s_barrier_signal -1
	s_barrier_wait -1
	global_inv scope:SCOPE_SE
	global_load_b128 v[5:8], v29, s[8:9] offset:10176
	v_lshlrev_b64_e32 v[1:2], 4, v[3:4]
	s_clause 0x1
	global_load_b128 v[9:12], v29, s[8:9] offset:10192
	global_load_b128 v[13:16], v29, s[8:9] offset:10208
	v_mul_i32_i24_e32 v3, 3, v39
	v_add_co_u32 v1, s0, s8, v1
	s_wait_alu 0xf1ff
	v_add_co_ci_u32_e64 v2, s0, s9, v2, s0
	s_delay_alu instid0(VALU_DEP_3)
	v_lshlrev_b64_e32 v[29:30], 4, v[3:4]
	v_mul_i32_i24_e32 v3, 3, v38
	s_clause 0x2
	global_load_b128 v[17:20], v[1:2], off offset:10176
	global_load_b128 v[21:24], v[1:2], off offset:10192
	;; [unrolled: 1-line block ×3, first 2 shown]
	v_add_co_u32 v1, s0, s8, v29
	s_wait_alu 0xf1ff
	v_add_co_ci_u32_e64 v2, s0, s9, v30, s0
	v_lshlrev_b64_e32 v[29:30], 4, v[3:4]
	v_mul_i32_i24_e32 v3, 3, v37
	s_clause 0x1
	global_load_b128 v[40:43], v[1:2], off offset:10176
	global_load_b128 v[44:47], v[1:2], off offset:10192
	v_add_co_u32 v29, s0, s8, v29
	v_lshlrev_b64_e32 v[60:61], 4, v[3:4]
	s_wait_alu 0xf1ff
	v_add_co_ci_u32_e64 v30, s0, s9, v30, s0
	s_clause 0x2
	global_load_b128 v[48:51], v[1:2], off offset:10208
	global_load_b128 v[52:55], v[29:30], off offset:10176
	;; [unrolled: 1-line block ×3, first 2 shown]
	v_add_co_u32 v1, s0, s8, v60
	s_wait_alu 0xf1ff
	v_add_co_ci_u32_e64 v2, s0, s9, v61, s0
	s_clause 0x3
	global_load_b128 v[60:63], v[29:30], off offset:10208
	global_load_b128 v[64:67], v[1:2], off offset:10176
	;; [unrolled: 1-line block ×4, first 2 shown]
	ds_load_b128 v[87:90], v70 offset:10240
	ds_load_b128 v[91:94], v70 offset:20480
	;; [unrolled: 1-line block ×4, first 2 shown]
	ds_load_b128 v[103:106], v70
	ds_load_b128 v[107:110], v70 offset:22528
	ds_load_b128 v[111:114], v70 offset:32768
	;; [unrolled: 1-line block ×6, first 2 shown]
	s_wait_loadcnt_dscnt 0xe0a
	v_mul_f64_e32 v[1:2], v[89:90], v[7:8]
	v_mul_f64_e32 v[7:8], v[87:88], v[7:8]
	s_wait_loadcnt_dscnt 0xd09
	v_mul_f64_e32 v[68:69], v[93:94], v[11:12]
	v_mul_f64_e32 v[11:12], v[91:92], v[11:12]
	s_wait_loadcnt_dscnt 0xc08
	v_mul_f64_e32 v[139:140], v[97:98], v[15:16]
	v_mul_f64_e32 v[15:16], v[95:96], v[15:16]
	s_wait_loadcnt_dscnt 0xb07
	v_mul_f64_e32 v[141:142], v[101:102], v[19:20]
	v_mul_f64_e32 v[19:20], v[99:100], v[19:20]
	s_wait_loadcnt_dscnt 0xa05
	v_mul_f64_e32 v[143:144], v[109:110], v[23:24]
	v_mul_f64_e32 v[23:24], v[107:108], v[23:24]
	s_wait_loadcnt_dscnt 0x904
	v_mul_f64_e32 v[145:146], v[113:114], v[27:28]
	v_mul_f64_e32 v[147:148], v[111:112], v[27:28]
	ds_load_b128 v[27:30], v70 offset:16384
	ds_load_b128 v[131:134], v70 offset:26624
	;; [unrolled: 1-line block ×3, first 2 shown]
	s_wait_loadcnt_dscnt 0x805
	v_mul_f64_e32 v[151:152], v[121:122], v[42:43]
	v_fma_f64 v[1:2], v[87:88], v[5:6], v[1:2]
	v_fma_f64 v[149:150], v[89:90], v[5:6], -v[7:8]
	ds_load_b128 v[5:8], v70 offset:18432
	ds_load_b128 v[87:90], v70 offset:38912
	v_fma_f64 v[68:69], v[91:92], v[9:10], v[68:69]
	v_fma_f64 v[91:92], v[93:94], v[9:10], -v[11:12]
	v_mul_f64_e32 v[9:10], v[119:120], v[42:43]
	s_wait_loadcnt_dscnt 0x706
	v_mul_f64_e32 v[11:12], v[125:126], v[46:47]
	v_mul_f64_e32 v[42:43], v[123:124], v[46:47]
	s_wait_loadcnt_dscnt 0x605
	v_mul_f64_e32 v[46:47], v[129:130], v[50:51]
	v_fma_f64 v[93:94], v[95:96], v[13:14], v[139:140]
	v_fma_f64 v[95:96], v[97:98], v[13:14], -v[15:16]
	v_mul_f64_e32 v[13:14], v[127:128], v[50:51]
	s_wait_loadcnt_dscnt 0x504
	v_mul_f64_e32 v[15:16], v[29:30], v[54:55]
	v_mul_f64_e32 v[50:51], v[27:28], v[54:55]
	s_wait_loadcnt_dscnt 0x403
	v_mul_f64_e32 v[54:55], v[133:134], v[58:59]
	v_fma_f64 v[97:98], v[99:100], v[17:18], v[141:142]
	v_fma_f64 v[99:100], v[101:102], v[17:18], -v[19:20]
	v_mul_f64_e32 v[17:18], v[131:132], v[58:59]
	s_wait_loadcnt_dscnt 0x302
	v_mul_f64_e32 v[19:20], v[137:138], v[62:63]
	v_mul_f64_e32 v[58:59], v[135:136], v[62:63]
	v_fma_f64 v[101:102], v[107:108], v[21:22], v[143:144]
	s_wait_loadcnt_dscnt 0x201
	v_mul_f64_e32 v[62:63], v[7:8], v[66:67]
	v_fma_f64 v[21:22], v[109:110], v[21:22], -v[23:24]
	v_mul_f64_e32 v[23:24], v[5:6], v[66:67]
	s_wait_loadcnt 0x1
	v_mul_f64_e32 v[66:67], v[117:118], v[81:82]
	v_mul_f64_e32 v[81:82], v[115:116], v[81:82]
	s_wait_loadcnt_dscnt 0x0
	v_mul_f64_e32 v[107:108], v[89:90], v[85:86]
	v_mul_f64_e32 v[85:86], v[87:88], v[85:86]
	v_fma_f64 v[109:110], v[111:112], v[25:26], v[145:146]
	v_fma_f64 v[25:26], v[113:114], v[25:26], -v[147:148]
	v_fma_f64 v[111:112], v[119:120], v[40:41], v[151:152]
	v_fma_f64 v[40:41], v[121:122], v[40:41], -v[9:10]
	;; [unrolled: 2-line block ×10, first 2 shown]
	ds_load_b128 v[5:8], v75
	ds_load_b128 v[9:12], v78
	;; [unrolled: 1-line block ×4, first 2 shown]
	v_add_f64_e64 v[66:67], v[103:104], -v[68:69]
	v_add_f64_e64 v[68:69], v[105:106], -v[91:92]
	;; [unrolled: 1-line block ×5, first 2 shown]
	global_wb scope:SCOPE_SE
	s_wait_dscnt 0x0
	s_barrier_signal -1
	s_barrier_wait -1
	global_inv scope:SCOPE_SE
	v_add_f64_e64 v[83:84], v[5:6], -v[101:102]
	v_add_f64_e64 v[85:86], v[7:8], -v[21:22]
	;; [unrolled: 1-line block ×15, first 2 shown]
	v_fma_f64 v[62:63], v[103:104], 2.0, -v[66:67]
	v_fma_f64 v[89:90], v[105:106], 2.0, -v[68:69]
	;; [unrolled: 1-line block ×13, first 2 shown]
	v_add_f64_e32 v[5:6], v[66:67], v[81:82]
	v_add_f64_e64 v[7:8], v[68:69], -v[79:80]
	v_fma_f64 v[111:112], v[15:16], 2.0, -v[101:102]
	v_fma_f64 v[113:114], v[27:28], 2.0, -v[48:49]
	;; [unrolled: 1-line block ×3, first 2 shown]
	v_add_f64_e32 v[9:10], v[83:84], v[25:26]
	v_add_f64_e64 v[11:12], v[85:86], -v[21:22]
	v_add_f64_e32 v[21:22], v[87:88], v[44:45]
	v_fma_f64 v[115:116], v[17:18], 2.0, -v[107:108]
	v_fma_f64 v[117:118], v[19:20], 2.0, -v[109:110]
	v_fma_f64 v[56:57], v[56:57], 2.0, -v[50:51]
	v_fma_f64 v[119:120], v[23:24], 2.0, -v[52:53]
	v_add_f64_e64 v[23:24], v[91:92], -v[42:43]
	v_add_f64_e64 v[42:43], v[101:102], -v[48:49]
	v_add_f64_e32 v[48:49], v[107:108], v[52:53]
	v_add_f64_e64 v[13:14], v[62:63], -v[1:2]
	v_add_f64_e64 v[15:16], v[89:90], -v[54:55]
	;; [unrolled: 1-line block ×3, first 2 shown]
                                        ; implicit-def: $vgpr2_vgpr3
	v_add_f64_e64 v[19:20], v[103:104], -v[60:61]
	v_add_f64_e64 v[17:18], v[95:96], -v[58:59]
	;; [unrolled: 1-line block ×4, first 2 shown]
	v_add_f64_e32 v[40:41], v[93:94], v[46:47]
	v_fma_f64 v[58:59], v[68:69], 2.0, -v[7:8]
	v_add_f64_e64 v[44:45], v[105:106], -v[113:114]
	v_add_f64_e64 v[46:47], v[111:112], -v[29:30]
	v_fma_f64 v[60:61], v[83:84], 2.0, -v[9:10]
	v_fma_f64 v[83:84], v[87:88], 2.0, -v[21:22]
	v_add_f64_e64 v[52:53], v[115:116], -v[56:57]
	v_add_f64_e64 v[54:55], v[117:118], -v[119:120]
	v_fma_f64 v[56:57], v[66:67], 2.0, -v[5:6]
	v_fma_f64 v[64:65], v[62:63], 2.0, -v[13:14]
	;; [unrolled: 1-line block ×17, first 2 shown]
	ds_store_b128 v70, v[5:8] offset:30720
	ds_store_b128 v70, v[13:16] offset:20480
	;; [unrolled: 1-line block ×3, first 2 shown]
	ds_store_b128 v70, v[64:67]
	ds_store_b128 v75, v[79:82]
	ds_store_b128 v75, v[60:63] offset:10240
	ds_store_b128 v75, v[17:20] offset:20480
	ds_store_b128 v75, v[9:12] offset:30720
	ds_store_b128 v78, v[87:90]
	ds_store_b128 v78, v[83:86] offset:10240
	ds_store_b128 v78, v[25:28] offset:20480
	ds_store_b128 v78, v[21:24] offset:30720
	;; [unrolled: 4-line block ×4, first 2 shown]
	global_wb scope:SCOPE_SE
	s_wait_dscnt 0x0
	s_barrier_signal -1
	s_barrier_wait -1
	global_inv scope:SCOPE_SE
	ds_load_b128 v[6:9], v70
	v_sub_nc_u32_e32 v16, 0, v34
                                        ; implicit-def: $vgpr12_vgpr13
                                        ; implicit-def: $vgpr14_vgpr15
                                        ; implicit-def: $vgpr10_vgpr11
	v_cmpx_ne_u32_e32 0, v0
	s_wait_alu 0xfffe
	s_xor_b32 s1, exec_lo, s1
	s_cbranch_execz .LBB0_15
; %bb.14:
	v_mov_b32_e32 v1, v4
	s_delay_alu instid0(VALU_DEP_1) | instskip(NEXT) | instid1(VALU_DEP_1)
	v_lshlrev_b64_e32 v[2:3], 4, v[0:1]
	v_add_co_u32 v2, s0, s8, v2
	s_wait_alu 0xf1ff
	s_delay_alu instid0(VALU_DEP_2)
	v_add_co_ci_u32_e64 v3, s0, s9, v3, s0
	global_load_b128 v[10:13], v[2:3], off offset:40896
	ds_load_b128 v[2:5], v16 offset:40960
	s_wait_dscnt 0x0
	v_add_f64_e64 v[14:15], v[6:7], -v[2:3]
	v_add_f64_e32 v[17:18], v[8:9], v[4:5]
	v_add_f64_e64 v[4:5], v[8:9], -v[4:5]
	v_add_f64_e32 v[2:3], v[6:7], v[2:3]
	s_delay_alu instid0(VALU_DEP_4) | instskip(NEXT) | instid1(VALU_DEP_4)
	v_mul_f64_e32 v[8:9], 0.5, v[14:15]
	v_mul_f64_e32 v[6:7], 0.5, v[17:18]
	s_delay_alu instid0(VALU_DEP_4) | instskip(SKIP_1) | instid1(VALU_DEP_3)
	v_mul_f64_e32 v[4:5], 0.5, v[4:5]
	s_wait_loadcnt 0x0
	v_mul_f64_e32 v[14:15], v[8:9], v[12:13]
	s_delay_alu instid0(VALU_DEP_2) | instskip(SKIP_1) | instid1(VALU_DEP_3)
	v_fma_f64 v[17:18], v[6:7], v[12:13], v[4:5]
	v_fma_f64 v[4:5], v[6:7], v[12:13], -v[4:5]
	v_fma_f64 v[19:20], v[2:3], 0.5, v[14:15]
	v_fma_f64 v[2:3], v[2:3], 0.5, -v[14:15]
	s_delay_alu instid0(VALU_DEP_4) | instskip(NEXT) | instid1(VALU_DEP_4)
	v_fma_f64 v[14:15], -v[10:11], v[8:9], v[17:18]
	v_fma_f64 v[4:5], -v[10:11], v[8:9], v[4:5]
	s_delay_alu instid0(VALU_DEP_4) | instskip(NEXT) | instid1(VALU_DEP_4)
	v_fma_f64 v[12:13], v[6:7], v[10:11], v[19:20]
	v_fma_f64 v[2:3], -v[6:7], v[10:11], v[2:3]
	v_dual_mov_b32 v11, v1 :: v_dual_mov_b32 v10, v0
                                        ; implicit-def: $vgpr6_vgpr7
.LBB0_15:
	s_wait_alu 0xfffe
	s_or_saveexec_b32 s0, s1
	v_mul_i32_i24_e32 v19, 0xffffffd0, v33
	v_mul_i32_i24_e32 v18, 0xffffffd0, v39
	;; [unrolled: 1-line block ×4, first 2 shown]
	s_wait_alu 0xfffe
	s_xor_b32 exec_lo, exec_lo, s0
	s_cbranch_execz .LBB0_17
; %bb.16:
	s_wait_dscnt 0x0
	v_add_f64_e32 v[12:13], v[6:7], v[8:9]
	v_add_f64_e64 v[2:3], v[6:7], -v[8:9]
	v_mov_b32_e32 v8, 0
	v_mov_b32_e32 v14, 0
	v_dual_mov_b32 v15, 0 :: v_dual_mov_b32 v10, 0
	s_delay_alu instid0(VALU_DEP_2)
	v_mov_b32_e32 v4, v14
	ds_load_b64 v[6:7], v8 offset:20488
	v_mov_b32_e32 v11, 0
	v_mov_b32_e32 v5, v15
	s_wait_dscnt 0x0
	v_xor_b32_e32 v7, 0x80000000, v7
	ds_store_b64 v8, v[6:7] offset:20488
.LBB0_17:
	s_or_b32 exec_lo, exec_lo, s0
	v_dual_mov_b32 v34, 0 :: v_dual_add_nc_u32 v19, v74, v19
	v_add_nc_u32_e32 v1, v71, v1
	s_wait_dscnt 0x0
	s_delay_alu instid0(VALU_DEP_2) | instskip(SKIP_1) | instid1(VALU_DEP_1)
	v_lshlrev_b64_e32 v[6:7], 4, v[33:34]
	v_mov_b32_e32 v40, v34
	v_lshlrev_b64_e32 v[20:21], 4, v[39:40]
	v_mov_b32_e32 v39, v34
	s_delay_alu instid0(VALU_DEP_4) | instskip(SKIP_2) | instid1(VALU_DEP_4)
	v_add_co_u32 v6, s0, s8, v6
	s_wait_alu 0xf1ff
	v_add_co_ci_u32_e64 v7, s0, s9, v7, s0
	v_add_co_u32 v20, s0, s8, v20
	s_wait_alu 0xf1ff
	v_add_co_ci_u32_e64 v21, s0, s9, v21, s0
	s_clause 0x1
	global_load_b128 v[6:9], v[6:7], off offset:40896
	global_load_b128 v[20:23], v[20:21], off offset:40896
	ds_store_2addr_b64 v70, v[12:13], v[14:15] offset1:1
	ds_store_b128 v16, v[2:5] offset:40960
	ds_load_b128 v[2:5], v19
	ds_load_b128 v[12:15], v16 offset:38912
	s_wait_dscnt 0x0
	v_add_f64_e64 v[24:25], v[2:3], -v[12:13]
	v_add_f64_e32 v[26:27], v[4:5], v[14:15]
	v_add_f64_e64 v[4:5], v[4:5], -v[14:15]
	v_add_f64_e32 v[2:3], v[2:3], v[12:13]
	s_delay_alu instid0(VALU_DEP_4) | instskip(NEXT) | instid1(VALU_DEP_4)
	v_mul_f64_e32 v[14:15], 0.5, v[24:25]
	v_mul_f64_e32 v[24:25], 0.5, v[26:27]
	s_delay_alu instid0(VALU_DEP_4) | instskip(SKIP_1) | instid1(VALU_DEP_3)
	v_mul_f64_e32 v[4:5], 0.5, v[4:5]
	s_wait_loadcnt 0x1
	v_mul_f64_e32 v[12:13], v[14:15], v[8:9]
	s_delay_alu instid0(VALU_DEP_2) | instskip(SKIP_1) | instid1(VALU_DEP_3)
	v_fma_f64 v[26:27], v[24:25], v[8:9], v[4:5]
	v_fma_f64 v[4:5], v[24:25], v[8:9], -v[4:5]
	v_fma_f64 v[8:9], v[2:3], 0.5, v[12:13]
	v_fma_f64 v[2:3], v[2:3], 0.5, -v[12:13]
	s_delay_alu instid0(VALU_DEP_4) | instskip(NEXT) | instid1(VALU_DEP_4)
	v_fma_f64 v[12:13], -v[6:7], v[14:15], v[26:27]
	v_fma_f64 v[14:15], -v[6:7], v[14:15], v[4:5]
	v_add_nc_u32_e32 v26, v73, v18
	v_fma_f64 v[8:9], v[24:25], v[6:7], v[8:9]
	v_fma_f64 v[6:7], -v[24:25], v[6:7], v[2:3]
	v_lshlrev_b64_e32 v[2:3], 4, v[38:39]
	v_mov_b32_e32 v38, v34
	s_delay_alu instid0(VALU_DEP_2) | instskip(SKIP_1) | instid1(VALU_DEP_3)
	v_add_co_u32 v2, s0, s8, v2
	s_wait_alu 0xf1ff
	v_add_co_ci_u32_e64 v3, s0, s9, v3, s0
	global_load_b128 v[2:5], v[2:3], off offset:40896
	ds_store_b64 v19, v[12:13] offset:8
	ds_store_b64 v16, v[14:15] offset:38920
	ds_store_b64 v19, v[8:9]
	ds_store_b64 v16, v[6:7] offset:38912
	ds_load_b128 v[6:9], v26
	ds_load_b128 v[12:15], v16 offset:36864
	s_wait_dscnt 0x0
	v_add_f64_e64 v[18:19], v[6:7], -v[12:13]
	v_add_f64_e32 v[24:25], v[8:9], v[14:15]
	v_add_f64_e64 v[8:9], v[8:9], -v[14:15]
	v_add_f64_e32 v[6:7], v[6:7], v[12:13]
	s_delay_alu instid0(VALU_DEP_4) | instskip(NEXT) | instid1(VALU_DEP_4)
	v_mul_f64_e32 v[14:15], 0.5, v[18:19]
	v_mul_f64_e32 v[18:19], 0.5, v[24:25]
	s_delay_alu instid0(VALU_DEP_4) | instskip(SKIP_1) | instid1(VALU_DEP_3)
	v_mul_f64_e32 v[8:9], 0.5, v[8:9]
	s_wait_loadcnt 0x1
	v_mul_f64_e32 v[12:13], v[14:15], v[22:23]
	s_delay_alu instid0(VALU_DEP_2) | instskip(SKIP_1) | instid1(VALU_DEP_3)
	v_fma_f64 v[24:25], v[18:19], v[22:23], v[8:9]
	v_fma_f64 v[8:9], v[18:19], v[22:23], -v[8:9]
	v_fma_f64 v[22:23], v[6:7], 0.5, v[12:13]
	v_fma_f64 v[6:7], v[6:7], 0.5, -v[12:13]
	s_delay_alu instid0(VALU_DEP_4)
	v_fma_f64 v[12:13], -v[20:21], v[14:15], v[24:25]
	v_add_nc_u32_e32 v25, v72, v17
	v_fma_f64 v[14:15], -v[20:21], v[14:15], v[8:9]
	v_fma_f64 v[22:23], v[18:19], v[20:21], v[22:23]
	v_fma_f64 v[18:19], -v[18:19], v[20:21], v[6:7]
	v_lshlrev_b64_e32 v[6:7], 4, v[37:38]
	s_delay_alu instid0(VALU_DEP_1) | instskip(SKIP_1) | instid1(VALU_DEP_2)
	v_add_co_u32 v6, s0, s8, v6
	s_wait_alu 0xf1ff
	v_add_co_ci_u32_e64 v7, s0, s9, v7, s0
	s_add_nc_u64 s[0:1], s[8:9], 0x9fc0
	global_load_b128 v[6:9], v[6:7], off offset:40896
	ds_store_b64 v26, v[12:13] offset:8
	ds_store_b64 v16, v[14:15] offset:36872
	ds_store_b64 v26, v[22:23]
	ds_store_b64 v16, v[18:19] offset:36864
	ds_load_b128 v[12:15], v25
	ds_load_b128 v[17:20], v16 offset:34816
	s_wait_dscnt 0x0
	v_add_f64_e64 v[21:22], v[12:13], -v[17:18]
	v_add_f64_e32 v[23:24], v[14:15], v[19:20]
	v_add_f64_e64 v[14:15], v[14:15], -v[19:20]
	v_add_f64_e32 v[12:13], v[12:13], v[17:18]
	s_delay_alu instid0(VALU_DEP_4) | instskip(NEXT) | instid1(VALU_DEP_4)
	v_mul_f64_e32 v[19:20], 0.5, v[21:22]
	v_mul_f64_e32 v[21:22], 0.5, v[23:24]
	s_delay_alu instid0(VALU_DEP_4) | instskip(SKIP_1) | instid1(VALU_DEP_3)
	v_mul_f64_e32 v[14:15], 0.5, v[14:15]
	s_wait_loadcnt 0x1
	v_mul_f64_e32 v[17:18], v[19:20], v[4:5]
	s_delay_alu instid0(VALU_DEP_2) | instskip(SKIP_1) | instid1(VALU_DEP_3)
	v_fma_f64 v[23:24], v[21:22], v[4:5], v[14:15]
	v_fma_f64 v[4:5], v[21:22], v[4:5], -v[14:15]
	v_fma_f64 v[14:15], v[12:13], 0.5, v[17:18]
	v_fma_f64 v[12:13], v[12:13], 0.5, -v[17:18]
	s_delay_alu instid0(VALU_DEP_4) | instskip(NEXT) | instid1(VALU_DEP_4)
	v_fma_f64 v[17:18], -v[2:3], v[19:20], v[23:24]
	v_fma_f64 v[19:20], -v[2:3], v[19:20], v[4:5]
	s_delay_alu instid0(VALU_DEP_4) | instskip(NEXT) | instid1(VALU_DEP_4)
	v_fma_f64 v[14:15], v[21:22], v[2:3], v[14:15]
	v_fma_f64 v[12:13], -v[21:22], v[2:3], v[12:13]
	v_lshlrev_b64_e32 v[2:3], 4, v[10:11]
	s_wait_alu 0xfffe
	s_delay_alu instid0(VALU_DEP_1) | instskip(SKIP_1) | instid1(VALU_DEP_2)
	v_add_co_u32 v21, s0, s0, v2
	s_wait_alu 0xf1ff
	v_add_co_ci_u32_e64 v22, s0, s1, v3, s0
	global_load_b128 v[2:5], v[21:22], off offset:10240
	ds_store_b64 v25, v[17:18] offset:8
	ds_store_b64 v16, v[19:20] offset:34824
	ds_store_b64 v25, v[14:15]
	ds_store_b64 v16, v[12:13] offset:34816
	ds_load_b128 v[10:13], v1
	ds_load_b128 v[17:20], v16 offset:32768
	v_lshl_or_b32 v25, v0, 4, 0x3800
	s_wait_dscnt 0x0
	v_add_f64_e64 v[14:15], v[10:11], -v[17:18]
	v_add_f64_e32 v[23:24], v[12:13], v[19:20]
	v_add_f64_e64 v[12:13], v[12:13], -v[19:20]
	v_add_f64_e32 v[10:11], v[10:11], v[17:18]
	s_delay_alu instid0(VALU_DEP_4) | instskip(NEXT) | instid1(VALU_DEP_4)
	v_mul_f64_e32 v[14:15], 0.5, v[14:15]
	v_mul_f64_e32 v[19:20], 0.5, v[23:24]
	s_delay_alu instid0(VALU_DEP_4) | instskip(SKIP_1) | instid1(VALU_DEP_3)
	v_mul_f64_e32 v[12:13], 0.5, v[12:13]
	s_wait_loadcnt 0x1
	v_mul_f64_e32 v[17:18], v[14:15], v[8:9]
	s_delay_alu instid0(VALU_DEP_2) | instskip(SKIP_1) | instid1(VALU_DEP_3)
	v_fma_f64 v[23:24], v[19:20], v[8:9], v[12:13]
	v_fma_f64 v[8:9], v[19:20], v[8:9], -v[12:13]
	v_fma_f64 v[12:13], v[10:11], 0.5, v[17:18]
	v_fma_f64 v[10:11], v[10:11], 0.5, -v[17:18]
	s_delay_alu instid0(VALU_DEP_4) | instskip(NEXT) | instid1(VALU_DEP_4)
	v_fma_f64 v[17:18], -v[6:7], v[14:15], v[23:24]
	v_fma_f64 v[14:15], -v[6:7], v[14:15], v[8:9]
	s_delay_alu instid0(VALU_DEP_4) | instskip(NEXT) | instid1(VALU_DEP_4)
	v_fma_f64 v[12:13], v[19:20], v[6:7], v[12:13]
	v_fma_f64 v[10:11], -v[19:20], v[6:7], v[10:11]
	global_load_b128 v[6:9], v[21:22], off offset:12288
	ds_store_b64 v1, v[17:18] offset:8
	ds_store_b64 v16, v[14:15] offset:32776
	ds_store_b64 v1, v[12:13]
	ds_store_b64 v16, v[10:11] offset:32768
	ds_load_b128 v[10:13], v70 offset:10240
	ds_load_b128 v[17:20], v16 offset:30720
	v_add_nc_u32_e32 v1, 0x2800, v70
	s_wait_dscnt 0x0
	v_add_f64_e64 v[14:15], v[10:11], -v[17:18]
	v_add_f64_e32 v[23:24], v[12:13], v[19:20]
	v_add_f64_e64 v[12:13], v[12:13], -v[19:20]
	v_add_f64_e32 v[10:11], v[10:11], v[17:18]
	s_delay_alu instid0(VALU_DEP_4) | instskip(NEXT) | instid1(VALU_DEP_4)
	v_mul_f64_e32 v[14:15], 0.5, v[14:15]
	v_mul_f64_e32 v[19:20], 0.5, v[23:24]
	s_delay_alu instid0(VALU_DEP_4) | instskip(SKIP_1) | instid1(VALU_DEP_3)
	v_mul_f64_e32 v[12:13], 0.5, v[12:13]
	s_wait_loadcnt 0x1
	v_mul_f64_e32 v[17:18], v[14:15], v[4:5]
	s_delay_alu instid0(VALU_DEP_2) | instskip(SKIP_1) | instid1(VALU_DEP_3)
	v_fma_f64 v[23:24], v[19:20], v[4:5], v[12:13]
	v_fma_f64 v[4:5], v[19:20], v[4:5], -v[12:13]
	v_fma_f64 v[12:13], v[10:11], 0.5, v[17:18]
	v_fma_f64 v[10:11], v[10:11], 0.5, -v[17:18]
	s_delay_alu instid0(VALU_DEP_4) | instskip(NEXT) | instid1(VALU_DEP_4)
	v_fma_f64 v[17:18], -v[2:3], v[14:15], v[23:24]
	v_fma_f64 v[4:5], -v[2:3], v[14:15], v[4:5]
	s_delay_alu instid0(VALU_DEP_4) | instskip(NEXT) | instid1(VALU_DEP_4)
	v_fma_f64 v[14:15], v[19:20], v[2:3], v[12:13]
	v_fma_f64 v[2:3], -v[19:20], v[2:3], v[10:11]
	global_load_b128 v[10:13], v25, s[8:9] offset:40896
	v_add_nc_u32_e32 v25, 0, v25
	ds_store_2addr_b64 v1, v[14:15], v[17:18] offset1:1
	ds_store_b128 v16, v[2:5] offset:30720
	ds_load_b128 v[1:4], v70 offset:12288
	ds_load_b128 v[17:20], v16 offset:28672
	s_wait_dscnt 0x0
	v_add_f64_e64 v[14:15], v[1:2], -v[17:18]
	v_add_f64_e32 v[23:24], v[3:4], v[19:20]
	v_add_f64_e64 v[3:4], v[3:4], -v[19:20]
	v_add_f64_e32 v[1:2], v[1:2], v[17:18]
	s_delay_alu instid0(VALU_DEP_4) | instskip(NEXT) | instid1(VALU_DEP_4)
	v_mul_f64_e32 v[14:15], 0.5, v[14:15]
	v_mul_f64_e32 v[19:20], 0.5, v[23:24]
	s_delay_alu instid0(VALU_DEP_4) | instskip(SKIP_1) | instid1(VALU_DEP_3)
	v_mul_f64_e32 v[3:4], 0.5, v[3:4]
	s_wait_loadcnt 0x1
	v_mul_f64_e32 v[17:18], v[14:15], v[8:9]
	s_delay_alu instid0(VALU_DEP_2) | instskip(SKIP_1) | instid1(VALU_DEP_3)
	v_fma_f64 v[23:24], v[19:20], v[8:9], v[3:4]
	v_fma_f64 v[3:4], v[19:20], v[8:9], -v[3:4]
	v_fma_f64 v[8:9], v[1:2], 0.5, v[17:18]
	v_fma_f64 v[1:2], v[1:2], 0.5, -v[17:18]
	s_delay_alu instid0(VALU_DEP_4) | instskip(NEXT) | instid1(VALU_DEP_4)
	v_fma_f64 v[17:18], -v[6:7], v[14:15], v[23:24]
	v_fma_f64 v[3:4], -v[6:7], v[14:15], v[3:4]
	s_delay_alu instid0(VALU_DEP_4) | instskip(NEXT) | instid1(VALU_DEP_4)
	v_fma_f64 v[14:15], v[19:20], v[6:7], v[8:9]
	v_fma_f64 v[1:2], -v[19:20], v[6:7], v[1:2]
	global_load_b128 v[5:8], v[21:22], off offset:16384
	v_add_nc_u32_e32 v9, 0x3000, v70
	ds_store_2addr_b64 v9, v[14:15], v[17:18] offset1:1
	ds_store_b128 v16, v[1:4] offset:28672
	ds_load_b128 v[1:4], v25
	ds_load_b128 v[17:20], v16 offset:26624
	s_wait_dscnt 0x0
	v_add_f64_e64 v[14:15], v[1:2], -v[17:18]
	v_add_f64_e32 v[23:24], v[3:4], v[19:20]
	v_add_f64_e64 v[3:4], v[3:4], -v[19:20]
	v_add_f64_e32 v[1:2], v[1:2], v[17:18]
	s_delay_alu instid0(VALU_DEP_4) | instskip(NEXT) | instid1(VALU_DEP_4)
	v_mul_f64_e32 v[14:15], 0.5, v[14:15]
	v_mul_f64_e32 v[19:20], 0.5, v[23:24]
	s_delay_alu instid0(VALU_DEP_4) | instskip(SKIP_1) | instid1(VALU_DEP_3)
	v_mul_f64_e32 v[3:4], 0.5, v[3:4]
	s_wait_loadcnt 0x1
	v_mul_f64_e32 v[17:18], v[14:15], v[12:13]
	s_delay_alu instid0(VALU_DEP_2) | instskip(SKIP_1) | instid1(VALU_DEP_3)
	v_fma_f64 v[23:24], v[19:20], v[12:13], v[3:4]
	v_fma_f64 v[3:4], v[19:20], v[12:13], -v[3:4]
	v_fma_f64 v[12:13], v[1:2], 0.5, v[17:18]
	v_fma_f64 v[1:2], v[1:2], 0.5, -v[17:18]
	s_delay_alu instid0(VALU_DEP_4) | instskip(NEXT) | instid1(VALU_DEP_4)
	v_fma_f64 v[17:18], -v[10:11], v[14:15], v[23:24]
	v_fma_f64 v[3:4], -v[10:11], v[14:15], v[3:4]
	s_delay_alu instid0(VALU_DEP_4) | instskip(NEXT) | instid1(VALU_DEP_4)
	v_fma_f64 v[13:14], v[19:20], v[10:11], v[12:13]
	v_fma_f64 v[1:2], -v[19:20], v[10:11], v[1:2]
	global_load_b128 v[9:12], v[21:22], off offset:18432
	ds_store_2addr_b64 v25, v[13:14], v[17:18] offset1:1
	ds_store_b128 v16, v[1:4] offset:26624
	ds_load_b128 v[1:4], v70 offset:16384
	ds_load_b128 v[17:20], v16 offset:24576
	s_wait_dscnt 0x0
	v_add_f64_e64 v[13:14], v[1:2], -v[17:18]
	v_add_f64_e32 v[21:22], v[3:4], v[19:20]
	v_add_f64_e64 v[3:4], v[3:4], -v[19:20]
	v_add_f64_e32 v[1:2], v[1:2], v[17:18]
	s_delay_alu instid0(VALU_DEP_4) | instskip(NEXT) | instid1(VALU_DEP_4)
	v_mul_f64_e32 v[13:14], 0.5, v[13:14]
	v_mul_f64_e32 v[19:20], 0.5, v[21:22]
	s_delay_alu instid0(VALU_DEP_4) | instskip(SKIP_1) | instid1(VALU_DEP_3)
	v_mul_f64_e32 v[3:4], 0.5, v[3:4]
	s_wait_loadcnt 0x1
	v_mul_f64_e32 v[17:18], v[13:14], v[7:8]
	s_delay_alu instid0(VALU_DEP_2) | instskip(SKIP_1) | instid1(VALU_DEP_3)
	v_fma_f64 v[21:22], v[19:20], v[7:8], v[3:4]
	v_fma_f64 v[3:4], v[19:20], v[7:8], -v[3:4]
	v_fma_f64 v[7:8], v[1:2], 0.5, v[17:18]
	v_fma_f64 v[1:2], v[1:2], 0.5, -v[17:18]
	s_delay_alu instid0(VALU_DEP_4) | instskip(NEXT) | instid1(VALU_DEP_4)
	v_fma_f64 v[17:18], -v[5:6], v[13:14], v[21:22]
	v_fma_f64 v[3:4], -v[5:6], v[13:14], v[3:4]
	s_delay_alu instid0(VALU_DEP_4) | instskip(NEXT) | instid1(VALU_DEP_4)
	v_fma_f64 v[7:8], v[19:20], v[5:6], v[7:8]
	v_fma_f64 v[1:2], -v[19:20], v[5:6], v[1:2]
	v_add_nc_u32_e32 v5, 0x4000, v70
	ds_store_2addr_b64 v5, v[7:8], v[17:18] offset1:1
	ds_store_b128 v16, v[1:4] offset:24576
	ds_load_b128 v[1:4], v70 offset:18432
	ds_load_b128 v[5:8], v16 offset:22528
	s_wait_dscnt 0x0
	v_add_f64_e64 v[13:14], v[1:2], -v[5:6]
	v_add_f64_e32 v[17:18], v[3:4], v[7:8]
	v_add_f64_e64 v[3:4], v[3:4], -v[7:8]
	v_add_f64_e32 v[1:2], v[1:2], v[5:6]
	s_delay_alu instid0(VALU_DEP_4) | instskip(NEXT) | instid1(VALU_DEP_4)
	v_mul_f64_e32 v[7:8], 0.5, v[13:14]
	v_mul_f64_e32 v[13:14], 0.5, v[17:18]
	s_delay_alu instid0(VALU_DEP_4) | instskip(SKIP_1) | instid1(VALU_DEP_3)
	v_mul_f64_e32 v[3:4], 0.5, v[3:4]
	s_wait_loadcnt 0x0
	v_mul_f64_e32 v[5:6], v[7:8], v[11:12]
	s_delay_alu instid0(VALU_DEP_2) | instskip(SKIP_1) | instid1(VALU_DEP_3)
	v_fma_f64 v[17:18], v[13:14], v[11:12], v[3:4]
	v_fma_f64 v[3:4], v[13:14], v[11:12], -v[3:4]
	v_fma_f64 v[11:12], v[1:2], 0.5, v[5:6]
	v_fma_f64 v[1:2], v[1:2], 0.5, -v[5:6]
	s_delay_alu instid0(VALU_DEP_4) | instskip(NEXT) | instid1(VALU_DEP_4)
	v_fma_f64 v[5:6], -v[9:10], v[7:8], v[17:18]
	v_fma_f64 v[3:4], -v[9:10], v[7:8], v[3:4]
	s_delay_alu instid0(VALU_DEP_4) | instskip(NEXT) | instid1(VALU_DEP_4)
	v_fma_f64 v[7:8], v[13:14], v[9:10], v[11:12]
	v_fma_f64 v[1:2], -v[13:14], v[9:10], v[1:2]
	v_add_nc_u32_e32 v9, 0x4800, v70
	ds_store_2addr_b64 v9, v[7:8], v[5:6] offset1:1
	ds_store_b128 v16, v[1:4] offset:22528
	global_wb scope:SCOPE_SE
	s_wait_dscnt 0x0
	s_barrier_signal -1
	s_barrier_wait -1
	global_inv scope:SCOPE_SE
	s_and_saveexec_b32 s0, vcc_lo
	s_cbranch_execz .LBB0_20
; %bb.18:
	v_mul_lo_u32 v4, s3, v35
	v_mul_lo_u32 v5, s2, v36
	v_mad_co_u64_u32 v[2:3], null, s2, v35, 0
	v_mov_b32_e32 v1, v34
	v_lshlrev_b64_e32 v[11:12], 4, v[31:32]
	v_lshl_add_u32 v29, v0, 4, 0
	v_add_nc_u32_e32 v33, 0x80, v0
	s_delay_alu instid0(VALU_DEP_4) | instskip(SKIP_1) | instid1(VALU_DEP_3)
	v_lshlrev_b64_e32 v[13:14], 4, v[0:1]
	v_add3_u32 v3, v3, v5, v4
	v_lshlrev_b64_e32 v[19:20], 4, v[33:34]
	v_add_nc_u32_e32 v33, 0x100, v0
	s_delay_alu instid0(VALU_DEP_3)
	v_lshlrev_b64_e32 v[1:2], 4, v[2:3]
	ds_load_b128 v[3:6], v29
	ds_load_b128 v[7:10], v29 offset:2048
	v_lshlrev_b64_e32 v[21:22], 4, v[33:34]
	v_add_nc_u32_e32 v33, 0x180, v0
	v_add_co_u32 v1, vcc_lo, s6, v1
	s_wait_alu 0xfffd
	v_add_co_ci_u32_e32 v2, vcc_lo, s7, v2, vcc_lo
	s_delay_alu instid0(VALU_DEP_3) | instskip(NEXT) | instid1(VALU_DEP_3)
	v_lshlrev_b64_e32 v[25:26], 4, v[33:34]
	v_add_co_u32 v1, vcc_lo, v1, v11
	s_wait_alu 0xfffd
	s_delay_alu instid0(VALU_DEP_3) | instskip(SKIP_1) | instid1(VALU_DEP_3)
	v_add_co_ci_u32_e32 v2, vcc_lo, v2, v12, vcc_lo
	v_add_nc_u32_e32 v33, 0x200, v0
	v_add_co_u32 v23, vcc_lo, v1, v13
	s_wait_alu 0xfffd
	s_delay_alu instid0(VALU_DEP_3)
	v_add_co_ci_u32_e32 v24, vcc_lo, v2, v14, vcc_lo
	ds_load_b128 v[11:14], v29 offset:4096
	ds_load_b128 v[15:18], v29 offset:6144
	v_add_co_u32 v19, vcc_lo, v1, v19
	s_wait_alu 0xfffd
	v_add_co_ci_u32_e32 v20, vcc_lo, v2, v20, vcc_lo
	v_add_co_u32 v21, vcc_lo, v1, v21
	s_wait_alu 0xfffd
	v_add_co_ci_u32_e32 v22, vcc_lo, v2, v22, vcc_lo
	v_add_co_u32 v25, vcc_lo, v1, v25
	v_lshlrev_b64_e32 v[27:28], 4, v[33:34]
	v_add_nc_u32_e32 v33, 0x280, v0
	s_wait_alu 0xfffd
	v_add_co_ci_u32_e32 v26, vcc_lo, v2, v26, vcc_lo
	s_wait_dscnt 0x3
	global_store_b128 v[23:24], v[3:6], off
	s_wait_dscnt 0x2
	global_store_b128 v[19:20], v[7:10], off
	;; [unrolled: 2-line block ×4, first 2 shown]
	v_lshlrev_b64_e32 v[19:20], 4, v[33:34]
	v_add_nc_u32_e32 v33, 0x300, v0
	ds_load_b128 v[3:6], v29 offset:8192
	ds_load_b128 v[7:10], v29 offset:10240
	;; [unrolled: 1-line block ×4, first 2 shown]
	v_add_co_u32 v21, vcc_lo, v1, v27
	v_lshlrev_b64_e32 v[23:24], 4, v[33:34]
	v_add_nc_u32_e32 v33, 0x380, v0
	s_wait_alu 0xfffd
	v_add_co_ci_u32_e32 v22, vcc_lo, v2, v28, vcc_lo
	v_add_co_u32 v19, vcc_lo, v1, v19
	s_delay_alu instid0(VALU_DEP_3)
	v_lshlrev_b64_e32 v[25:26], 4, v[33:34]
	v_add_nc_u32_e32 v33, 0x400, v0
	s_wait_alu 0xfffd
	v_add_co_ci_u32_e32 v20, vcc_lo, v2, v20, vcc_lo
	v_add_co_u32 v23, vcc_lo, v1, v23
	s_wait_alu 0xfffd
	v_add_co_ci_u32_e32 v24, vcc_lo, v2, v24, vcc_lo
	v_add_co_u32 v25, vcc_lo, v1, v25
	v_lshlrev_b64_e32 v[27:28], 4, v[33:34]
	v_add_nc_u32_e32 v33, 0x480, v0
	s_wait_alu 0xfffd
	v_add_co_ci_u32_e32 v26, vcc_lo, v2, v26, vcc_lo
	s_wait_dscnt 0x3
	global_store_b128 v[21:22], v[3:6], off
	s_wait_dscnt 0x2
	global_store_b128 v[19:20], v[7:10], off
	;; [unrolled: 2-line block ×4, first 2 shown]
	ds_load_b128 v[3:6], v29 offset:16384
	ds_load_b128 v[7:10], v29 offset:18432
	v_lshlrev_b64_e32 v[19:20], 4, v[33:34]
	v_add_nc_u32_e32 v33, 0x500, v0
	ds_load_b128 v[11:14], v29 offset:20480
	ds_load_b128 v[15:18], v29 offset:22528
	v_add_co_u32 v21, vcc_lo, v1, v27
	s_wait_alu 0xfffd
	v_add_co_ci_u32_e32 v22, vcc_lo, v2, v28, vcc_lo
	v_lshlrev_b64_e32 v[23:24], 4, v[33:34]
	v_add_nc_u32_e32 v33, 0x580, v0
	v_add_co_u32 v19, vcc_lo, v1, v19
	s_wait_alu 0xfffd
	v_add_co_ci_u32_e32 v20, vcc_lo, v2, v20, vcc_lo
	s_delay_alu instid0(VALU_DEP_3) | instskip(SKIP_4) | instid1(VALU_DEP_4)
	v_lshlrev_b64_e32 v[25:26], 4, v[33:34]
	v_add_nc_u32_e32 v33, 0x600, v0
	v_add_co_u32 v23, vcc_lo, v1, v23
	s_wait_alu 0xfffd
	v_add_co_ci_u32_e32 v24, vcc_lo, v2, v24, vcc_lo
	v_add_co_u32 v25, vcc_lo, v1, v25
	v_lshlrev_b64_e32 v[27:28], 4, v[33:34]
	v_add_nc_u32_e32 v33, 0x680, v0
	s_wait_alu 0xfffd
	v_add_co_ci_u32_e32 v26, vcc_lo, v2, v26, vcc_lo
	s_wait_dscnt 0x3
	global_store_b128 v[21:22], v[3:6], off
	s_wait_dscnt 0x2
	global_store_b128 v[19:20], v[7:10], off
	;; [unrolled: 2-line block ×4, first 2 shown]
	ds_load_b128 v[3:6], v29 offset:24576
	ds_load_b128 v[7:10], v29 offset:26624
	v_lshlrev_b64_e32 v[19:20], 4, v[33:34]
	v_add_nc_u32_e32 v33, 0x700, v0
	ds_load_b128 v[11:14], v29 offset:28672
	ds_load_b128 v[15:18], v29 offset:30720
	v_add_co_u32 v21, vcc_lo, v1, v27
	s_wait_alu 0xfffd
	v_add_co_ci_u32_e32 v22, vcc_lo, v2, v28, vcc_lo
	v_lshlrev_b64_e32 v[23:24], 4, v[33:34]
	v_add_nc_u32_e32 v33, 0x780, v0
	v_add_co_u32 v19, vcc_lo, v1, v19
	s_wait_alu 0xfffd
	v_add_co_ci_u32_e32 v20, vcc_lo, v2, v20, vcc_lo
	s_delay_alu instid0(VALU_DEP_3) | instskip(SKIP_4) | instid1(VALU_DEP_3)
	v_lshlrev_b64_e32 v[25:26], 4, v[33:34]
	v_add_nc_u32_e32 v33, 0x800, v0
	v_add_co_u32 v23, vcc_lo, v1, v23
	s_wait_alu 0xfffd
	v_add_co_ci_u32_e32 v24, vcc_lo, v2, v24, vcc_lo
	v_lshlrev_b64_e32 v[27:28], 4, v[33:34]
	v_add_nc_u32_e32 v33, 0x880, v0
	v_add_co_u32 v25, vcc_lo, v1, v25
	s_wait_alu 0xfffd
	v_add_co_ci_u32_e32 v26, vcc_lo, v2, v26, vcc_lo
	s_wait_dscnt 0x3
	global_store_b128 v[21:22], v[3:6], off
	s_wait_dscnt 0x2
	global_store_b128 v[19:20], v[7:10], off
	s_wait_dscnt 0x1
	global_store_b128 v[23:24], v[11:14], off
	s_wait_dscnt 0x0
	global_store_b128 v[25:26], v[15:18], off
	v_lshlrev_b64_e32 v[21:22], 4, v[33:34]
	v_add_nc_u32_e32 v33, 0x900, v0
	ds_load_b128 v[3:6], v29 offset:32768
	ds_load_b128 v[7:10], v29 offset:34816
	;; [unrolled: 1-line block ×4, first 2 shown]
	v_add_co_u32 v19, vcc_lo, v1, v27
	s_wait_alu 0xfffd
	v_add_co_ci_u32_e32 v20, vcc_lo, v2, v28, vcc_lo
	v_lshlrev_b64_e32 v[23:24], 4, v[33:34]
	v_add_nc_u32_e32 v33, 0x980, v0
	v_add_co_u32 v21, vcc_lo, v1, v21
	s_wait_alu 0xfffd
	v_add_co_ci_u32_e32 v22, vcc_lo, v2, v22, vcc_lo
	s_delay_alu instid0(VALU_DEP_3) | instskip(SKIP_3) | instid1(VALU_DEP_3)
	v_lshlrev_b64_e32 v[25:26], 4, v[33:34]
	v_add_co_u32 v23, vcc_lo, v1, v23
	s_wait_alu 0xfffd
	v_add_co_ci_u32_e32 v24, vcc_lo, v2, v24, vcc_lo
	v_add_co_u32 v25, vcc_lo, v1, v25
	s_wait_alu 0xfffd
	v_add_co_ci_u32_e32 v26, vcc_lo, v2, v26, vcc_lo
	v_cmp_eq_u32_e32 vcc_lo, 0x7f, v0
	s_wait_dscnt 0x3
	global_store_b128 v[19:20], v[3:6], off
	s_wait_dscnt 0x2
	global_store_b128 v[21:22], v[7:10], off
	;; [unrolled: 2-line block ×4, first 2 shown]
	s_and_b32 exec_lo, exec_lo, vcc_lo
	s_cbranch_execz .LBB0_20
; %bb.19:
	v_mov_b32_e32 v0, 0
	ds_load_b128 v[3:6], v0 offset:40960
	s_wait_dscnt 0x0
	global_store_b128 v[1:2], v[3:6], off offset:40960
.LBB0_20:
	s_nop 0
	s_sendmsg sendmsg(MSG_DEALLOC_VGPRS)
	s_endpgm
	.section	.rodata,"a",@progbits
	.p2align	6, 0x0
	.amdhsa_kernel fft_rtc_back_len2560_factors_4_4_4_10_4_wgs_128_tpt_128_halfLds_dp_op_CI_CI_unitstride_sbrr_R2C_dirReg
		.amdhsa_group_segment_fixed_size 0
		.amdhsa_private_segment_fixed_size 0
		.amdhsa_kernarg_size 104
		.amdhsa_user_sgpr_count 2
		.amdhsa_user_sgpr_dispatch_ptr 0
		.amdhsa_user_sgpr_queue_ptr 0
		.amdhsa_user_sgpr_kernarg_segment_ptr 1
		.amdhsa_user_sgpr_dispatch_id 0
		.amdhsa_user_sgpr_private_segment_size 0
		.amdhsa_wavefront_size32 1
		.amdhsa_uses_dynamic_stack 0
		.amdhsa_enable_private_segment 0
		.amdhsa_system_sgpr_workgroup_id_x 1
		.amdhsa_system_sgpr_workgroup_id_y 0
		.amdhsa_system_sgpr_workgroup_id_z 0
		.amdhsa_system_sgpr_workgroup_info 0
		.amdhsa_system_vgpr_workitem_id 0
		.amdhsa_next_free_vgpr 170
		.amdhsa_next_free_sgpr 39
		.amdhsa_reserve_vcc 1
		.amdhsa_float_round_mode_32 0
		.amdhsa_float_round_mode_16_64 0
		.amdhsa_float_denorm_mode_32 3
		.amdhsa_float_denorm_mode_16_64 3
		.amdhsa_fp16_overflow 0
		.amdhsa_workgroup_processor_mode 1
		.amdhsa_memory_ordered 1
		.amdhsa_forward_progress 0
		.amdhsa_round_robin_scheduling 0
		.amdhsa_exception_fp_ieee_invalid_op 0
		.amdhsa_exception_fp_denorm_src 0
		.amdhsa_exception_fp_ieee_div_zero 0
		.amdhsa_exception_fp_ieee_overflow 0
		.amdhsa_exception_fp_ieee_underflow 0
		.amdhsa_exception_fp_ieee_inexact 0
		.amdhsa_exception_int_div_zero 0
	.end_amdhsa_kernel
	.text
.Lfunc_end0:
	.size	fft_rtc_back_len2560_factors_4_4_4_10_4_wgs_128_tpt_128_halfLds_dp_op_CI_CI_unitstride_sbrr_R2C_dirReg, .Lfunc_end0-fft_rtc_back_len2560_factors_4_4_4_10_4_wgs_128_tpt_128_halfLds_dp_op_CI_CI_unitstride_sbrr_R2C_dirReg
                                        ; -- End function
	.section	.AMDGPU.csdata,"",@progbits
; Kernel info:
; codeLenInByte = 14756
; NumSgprs: 41
; NumVgprs: 170
; ScratchSize: 0
; MemoryBound: 0
; FloatMode: 240
; IeeeMode: 1
; LDSByteSize: 0 bytes/workgroup (compile time only)
; SGPRBlocks: 5
; VGPRBlocks: 21
; NumSGPRsForWavesPerEU: 41
; NumVGPRsForWavesPerEU: 170
; Occupancy: 8
; WaveLimiterHint : 1
; COMPUTE_PGM_RSRC2:SCRATCH_EN: 0
; COMPUTE_PGM_RSRC2:USER_SGPR: 2
; COMPUTE_PGM_RSRC2:TRAP_HANDLER: 0
; COMPUTE_PGM_RSRC2:TGID_X_EN: 1
; COMPUTE_PGM_RSRC2:TGID_Y_EN: 0
; COMPUTE_PGM_RSRC2:TGID_Z_EN: 0
; COMPUTE_PGM_RSRC2:TIDIG_COMP_CNT: 0
	.text
	.p2alignl 7, 3214868480
	.fill 96, 4, 3214868480
	.type	__hip_cuid_cf01b63ef2b387e9,@object ; @__hip_cuid_cf01b63ef2b387e9
	.section	.bss,"aw",@nobits
	.globl	__hip_cuid_cf01b63ef2b387e9
__hip_cuid_cf01b63ef2b387e9:
	.byte	0                               ; 0x0
	.size	__hip_cuid_cf01b63ef2b387e9, 1

	.ident	"AMD clang version 19.0.0git (https://github.com/RadeonOpenCompute/llvm-project roc-6.4.0 25133 c7fe45cf4b819c5991fe208aaa96edf142730f1d)"
	.section	".note.GNU-stack","",@progbits
	.addrsig
	.addrsig_sym __hip_cuid_cf01b63ef2b387e9
	.amdgpu_metadata
---
amdhsa.kernels:
  - .args:
      - .actual_access:  read_only
        .address_space:  global
        .offset:         0
        .size:           8
        .value_kind:     global_buffer
      - .offset:         8
        .size:           8
        .value_kind:     by_value
      - .actual_access:  read_only
        .address_space:  global
        .offset:         16
        .size:           8
        .value_kind:     global_buffer
      - .actual_access:  read_only
        .address_space:  global
        .offset:         24
        .size:           8
        .value_kind:     global_buffer
      - .actual_access:  read_only
        .address_space:  global
        .offset:         32
        .size:           8
        .value_kind:     global_buffer
      - .offset:         40
        .size:           8
        .value_kind:     by_value
      - .actual_access:  read_only
        .address_space:  global
        .offset:         48
        .size:           8
        .value_kind:     global_buffer
      - .actual_access:  read_only
        .address_space:  global
        .offset:         56
        .size:           8
        .value_kind:     global_buffer
      - .offset:         64
        .size:           4
        .value_kind:     by_value
      - .actual_access:  read_only
        .address_space:  global
        .offset:         72
        .size:           8
        .value_kind:     global_buffer
      - .actual_access:  read_only
        .address_space:  global
        .offset:         80
        .size:           8
        .value_kind:     global_buffer
      - .actual_access:  read_only
        .address_space:  global
        .offset:         88
        .size:           8
        .value_kind:     global_buffer
      - .actual_access:  write_only
        .address_space:  global
        .offset:         96
        .size:           8
        .value_kind:     global_buffer
    .group_segment_fixed_size: 0
    .kernarg_segment_align: 8
    .kernarg_segment_size: 104
    .language:       OpenCL C
    .language_version:
      - 2
      - 0
    .max_flat_workgroup_size: 128
    .name:           fft_rtc_back_len2560_factors_4_4_4_10_4_wgs_128_tpt_128_halfLds_dp_op_CI_CI_unitstride_sbrr_R2C_dirReg
    .private_segment_fixed_size: 0
    .sgpr_count:     41
    .sgpr_spill_count: 0
    .symbol:         fft_rtc_back_len2560_factors_4_4_4_10_4_wgs_128_tpt_128_halfLds_dp_op_CI_CI_unitstride_sbrr_R2C_dirReg.kd
    .uniform_work_group_size: 1
    .uses_dynamic_stack: false
    .vgpr_count:     170
    .vgpr_spill_count: 0
    .wavefront_size: 32
    .workgroup_processor_mode: 1
amdhsa.target:   amdgcn-amd-amdhsa--gfx1201
amdhsa.version:
  - 1
  - 2
...

	.end_amdgpu_metadata
